;; amdgpu-corpus repo=ROCm/rocFFT kind=compiled arch=gfx1201 opt=O3
	.text
	.amdgcn_target "amdgcn-amd-amdhsa--gfx1201"
	.amdhsa_code_object_version 6
	.protected	bluestein_single_back_len432_dim1_half_op_CI_CI ; -- Begin function bluestein_single_back_len432_dim1_half_op_CI_CI
	.globl	bluestein_single_back_len432_dim1_half_op_CI_CI
	.p2align	8
	.type	bluestein_single_back_len432_dim1_half_op_CI_CI,@function
bluestein_single_back_len432_dim1_half_op_CI_CI: ; @bluestein_single_back_len432_dim1_half_op_CI_CI
; %bb.0:
	s_load_b128 s[8:11], s[0:1], 0x28
	v_mul_u32_u24_e32 v1, 0x97c, v0
	v_mov_b32_e32 v18, 0
	s_mov_b32 s2, exec_lo
	s_delay_alu instid0(VALU_DEP_2) | instskip(NEXT) | instid1(VALU_DEP_1)
	v_lshrrev_b32_e32 v2, 16, v1
	v_lshl_add_u32 v17, ttmp9, 1, v2
	s_wait_kmcnt 0x0
	s_delay_alu instid0(VALU_DEP_1)
	v_cmpx_gt_u64_e64 s[8:9], v[17:18]
	s_cbranch_execz .LBB0_31
; %bb.1:
	s_clause 0x1
	s_load_b128 s[4:7], s[0:1], 0x18
	s_load_b64 s[16:17], s[0:1], 0x0
	v_mul_lo_u16 v1, v2, 27
	s_delay_alu instid0(VALU_DEP_1) | instskip(NEXT) | instid1(VALU_DEP_1)
	v_sub_nc_u16 v10, v0, v1
	v_and_b32_e32 v87, 0xffff, v10
	s_wait_kmcnt 0x0
	s_load_b128 s[12:15], s[4:5], 0x0
	s_load_b64 s[4:5], s[0:1], 0x38
	s_wait_kmcnt 0x0
	v_mad_co_u64_u32 v[0:1], null, s14, v17, 0
	v_mad_co_u64_u32 v[3:4], null, s12, v87, 0
	s_mul_u64 s[2:3], s[12:13], 0x90
	s_delay_alu instid0(VALU_DEP_2) | instskip(NEXT) | instid1(VALU_DEP_2)
	v_mad_co_u64_u32 v[5:6], null, s15, v17, v[1:2]
	v_mov_b32_e32 v1, v4
	s_lshl_b64 s[14:15], s[2:3], 2
	s_mul_i32 s2, s13, 0xfffffe2c
	s_delay_alu instid0(SALU_CYCLE_1) | instskip(NEXT) | instid1(VALU_DEP_1)
	s_sub_co_i32 s2, s2, s12
	v_mad_co_u64_u32 v[8:9], null, s13, v87, v[1:2]
	s_delay_alu instid0(VALU_DEP_3) | instskip(NEXT) | instid1(VALU_DEP_2)
	v_dual_mov_b32 v1, v5 :: v_dual_and_b32 v2, 1, v2
	v_mov_b32_e32 v4, v8
	v_or_b32_e32 v81, 0x120, v87
	v_lshlrev_b32_e32 v104, 2, v87
	s_delay_alu instid0(VALU_DEP_4)
	v_lshlrev_b64_e32 v[0:1], 2, v[0:1]
	s_clause 0x1
	global_load_b32 v83, v104, s[16:17] offset:684
	global_load_b32 v76, v104, s[16:17] offset:792
	v_mad_co_u64_u32 v[6:7], null, s12, v81, 0
	v_lshlrev_b64_e32 v[3:4], 2, v[3:4]
	s_clause 0xb
	global_load_b32 v89, v104, s[16:17]
	global_load_b32 v85, v104, s[16:17] offset:108
	global_load_b32 v78, v104, s[16:17] offset:216
	;; [unrolled: 1-line block ×11, first 2 shown]
	v_mov_b32_e32 v5, v7
	s_delay_alu instid0(VALU_DEP_1) | instskip(SKIP_2) | instid1(VALU_DEP_2)
	v_mad_co_u64_u32 v[7:8], null, s13, v81, v[5:6]
	v_add_co_u32 v8, vcc_lo, s10, v0
	v_add_co_ci_u32_e32 v9, vcc_lo, s11, v1, vcc_lo
	v_add_co_u32 v0, vcc_lo, v8, v3
	s_wait_alu 0xfffd
	s_delay_alu instid0(VALU_DEP_2)
	v_add_co_ci_u32_e32 v1, vcc_lo, v9, v4, vcc_lo
	v_lshlrev_b64_e32 v[5:6], 2, v[6:7]
	s_wait_alu 0xfffe
	v_add_co_u32 v3, vcc_lo, v0, s14
	s_wait_alu 0xfffd
	v_add_co_ci_u32_e32 v4, vcc_lo, s15, v1, vcc_lo
	global_load_b32 v64, v104, s[16:17] offset:1008
	global_load_b32 v7, v[0:1], off
	v_add_co_u32 v5, vcc_lo, v8, v5
	v_mad_co_u64_u32 v[0:1], null, 0xfffffe2c, s12, v[3:4]
	s_wait_alu 0xfffd
	v_add_co_ci_u32_e32 v6, vcc_lo, v9, v6, vcc_lo
	s_clause 0x1
	global_load_b32 v8, v[3:4], off
	global_load_b32 v9, v[5:6], off
	v_add_nc_u32_e32 v1, s2, v1
	s_movk_i32 s2, 0xfefb
	s_mov_b32 s3, -1
	s_wait_alu 0xfffe
	s_mul_u64 s[2:3], s[12:13], s[2:3]
	global_load_b32 v11, v[0:1], off
	v_add_co_u32 v0, vcc_lo, v0, s14
	s_wait_alu 0xfffd
	v_add_co_ci_u32_e32 v1, vcc_lo, s15, v1, vcc_lo
	s_wait_alu 0xfffe
	s_lshl_b64 s[2:3], s[2:3], 2
	v_add_co_u32 v3, vcc_lo, v0, s14
	s_wait_alu 0xfffd
	v_add_co_ci_u32_e32 v4, vcc_lo, s15, v1, vcc_lo
	s_clause 0x1
	global_load_b32 v12, v[0:1], off
	global_load_b32 v13, v[3:4], off
	s_wait_alu 0xfffe
	v_add_co_u32 v0, vcc_lo, v3, s2
	s_wait_alu 0xfffd
	v_add_co_ci_u32_e32 v1, vcc_lo, s3, v4, vcc_lo
	s_delay_alu instid0(VALU_DEP_2) | instskip(SKIP_1) | instid1(VALU_DEP_2)
	v_add_co_u32 v3, vcc_lo, v0, s14
	s_wait_alu 0xfffd
	v_add_co_ci_u32_e32 v4, vcc_lo, s15, v1, vcc_lo
	global_load_b32 v14, v[0:1], off
	v_add_co_u32 v0, vcc_lo, v3, s14
	s_wait_alu 0xfffd
	v_add_co_ci_u32_e32 v1, vcc_lo, s15, v4, vcc_lo
	global_load_b32 v18, v[3:4], off
	;; [unrolled: 4-line block ×3, first 2 shown]
	global_load_b32 v20, v[3:4], off
	v_add_co_u32 v0, vcc_lo, v3, s14
	s_wait_alu 0xfffd
	v_add_co_ci_u32_e32 v1, vcc_lo, s15, v4, vcc_lo
	s_delay_alu instid0(VALU_DEP_2) | instskip(SKIP_1) | instid1(VALU_DEP_2)
	v_add_co_u32 v3, vcc_lo, v0, s14
	s_wait_alu 0xfffd
	v_add_co_ci_u32_e32 v4, vcc_lo, s15, v1, vcc_lo
	global_load_b32 v21, v[0:1], off
	v_add_co_u32 v5, vcc_lo, v3, s2
	s_wait_alu 0xfffd
	v_add_co_ci_u32_e32 v6, vcc_lo, s3, v4, vcc_lo
	global_load_b32 v22, v[3:4], off
	v_add_co_u32 v3, vcc_lo, v5, s14
	s_wait_alu 0xfffd
	v_add_co_ci_u32_e32 v4, vcc_lo, s15, v6, vcc_lo
	s_delay_alu instid0(VALU_DEP_2) | instskip(SKIP_1) | instid1(VALU_DEP_2)
	v_add_co_u32 v0, vcc_lo, v3, s14
	s_wait_alu 0xfffd
	v_add_co_ci_u32_e32 v1, vcc_lo, s15, v4, vcc_lo
	global_load_b32 v5, v[5:6], off
	global_load_b32 v3, v[3:4], off
	;; [unrolled: 1-line block ×3, first 2 shown]
	v_cmp_eq_u32_e32 vcc_lo, 1, v2
	s_load_b128 s[8:11], s[6:7], 0x0
	v_add_co_u32 v15, s6, s16, v104
	s_delay_alu instid0(VALU_DEP_1) | instskip(SKIP_2) | instid1(VALU_DEP_2)
	v_add_co_ci_u32_e64 v16, null, s17, 0, s6
	v_cndmask_b32_e64 v124, 0, 0x1b0, vcc_lo
	v_cmp_gt_u16_e32 vcc_lo, 9, v10
	v_lshlrev_b32_e32 v95, 2, v124
	s_delay_alu instid0(VALU_DEP_1) | instskip(NEXT) | instid1(VALU_DEP_1)
	v_add_nc_u32_e32 v62, v95, v104
	v_add_nc_u32_e32 v4, 0x400, v62
	s_wait_loadcnt 0x1d
	v_lshrrev_b32_e32 v86, 16, v83
	s_wait_loadcnt 0x1b
	v_lshrrev_b32_e32 v94, 16, v89
	;; [unrolled: 2-line block ×5, first 2 shown]
	v_lshrrev_b32_e32 v93, 16, v91
	v_lshrrev_b32_e32 v80, 16, v78
	;; [unrolled: 1-line block ×3, first 2 shown]
	s_wait_loadcnt 0x12
	v_lshrrev_b32_e32 v77, 16, v75
	v_lshrrev_b32_e32 v74, 16, v72
	;; [unrolled: 1-line block ×3, first 2 shown]
	s_wait_loadcnt 0x11
	v_lshrrev_b32_e32 v70, 16, v69
	v_lshrrev_b32_e32 v68, 16, v67
	s_wait_loadcnt 0x10
	v_lshrrev_b32_e32 v65, 16, v63
	s_wait_loadcnt 0xf
	;; [unrolled: 2-line block ×3, first 2 shown]
	v_lshrrev_b32_e32 v2, 16, v7
	v_mul_f16_e32 v23, v94, v7
	s_delay_alu instid0(VALU_DEP_2) | instskip(NEXT) | instid1(VALU_DEP_2)
	v_mul_f16_e32 v24, v94, v2
	v_fma_f16 v2, v89, v2, -v23
	s_wait_loadcnt 0xd
	v_lshrrev_b32_e32 v25, 16, v8
	s_wait_loadcnt 0xc
	v_lshrrev_b32_e32 v26, 16, v9
	v_mul_f16_e32 v23, v93, v8
	v_mul_f16_e32 v27, v92, v9
	v_fmac_f16_e32 v24, v89, v7
	v_mul_f16_e32 v28, v93, v25
	v_mul_f16_e32 v29, v92, v26
	v_fma_f16 v7, v91, v25, -v23
	v_fma_f16 v23, v90, v26, -v27
	v_pack_b32_f16 v2, v24, v2
	v_fmac_f16_e32 v28, v91, v8
	v_fmac_f16_e32 v29, v90, v9
	s_wait_loadcnt 0xb
	v_lshrrev_b32_e32 v8, 16, v11
	v_mul_f16_e32 v9, v88, v11
	v_pack_b32_f16 v7, v28, v7
	v_pack_b32_f16 v23, v29, v23
	s_delay_alu instid0(VALU_DEP_4) | instskip(NEXT) | instid1(VALU_DEP_4)
	v_mul_f16_e32 v24, v88, v8
	v_fma_f16 v8, v85, v8, -v9
	s_wait_loadcnt 0xa
	v_lshrrev_b32_e32 v9, 16, v12
	v_mul_f16_e32 v25, v86, v12
	ds_store_b32 v62, v7 offset:576
	ds_store_b32 v62, v23 offset:1152
	v_fmac_f16_e32 v24, v85, v11
	s_wait_loadcnt 0x9
	v_lshrrev_b32_e32 v11, 16, v13
	v_mul_f16_e32 v7, v86, v9
	v_mul_f16_e32 v23, v84, v13
	v_fma_f16 v9, v83, v9, -v25
	v_pack_b32_f16 v8, v24, v8
	s_delay_alu instid0(VALU_DEP_4)
	v_fmac_f16_e32 v7, v83, v12
	v_mul_f16_e32 v12, v84, v11
	v_fma_f16 v11, v82, v11, -v23
	s_wait_loadcnt 0x8
	v_lshrrev_b32_e32 v23, 16, v14
	v_mul_f16_e32 v24, v80, v14
	ds_store_2addr_b32 v62, v2, v8 offset1:27
	v_pack_b32_f16 v2, v7, v9
	v_fmac_f16_e32 v12, v82, v13
	v_mul_f16_e32 v7, v80, v23
	s_wait_loadcnt 0x7
	v_lshrrev_b32_e32 v8, 16, v18
	v_fma_f16 v9, v78, v23, -v24
	v_mul_f16_e32 v13, v79, v18
	v_pack_b32_f16 v11, v12, v11
	v_fmac_f16_e32 v7, v78, v14
	v_mul_f16_e32 v12, v79, v8
	s_wait_loadcnt 0x6
	v_lshrrev_b32_e32 v14, 16, v19
	v_fma_f16 v8, v76, v8, -v13
	v_mul_f16_e32 v13, v77, v19
	v_pack_b32_f16 v7, v7, v9
	v_fmac_f16_e32 v12, v76, v18
	v_mul_f16_e32 v9, v77, v14
	s_wait_loadcnt 0x5
	v_lshrrev_b32_e32 v18, 16, v20
	v_mul_f16_e32 v23, v74, v20
	v_fma_f16 v13, v75, v14, -v13
	v_pack_b32_f16 v8, v12, v8
	v_fmac_f16_e32 v9, v75, v19
	v_mul_f16_e32 v12, v74, v18
	v_fma_f16 v14, v72, v18, -v23
	s_wait_loadcnt 0x4
	v_lshrrev_b32_e32 v18, 16, v21
	v_mul_f16_e32 v19, v73, v21
	ds_store_2addr_b32 v62, v2, v8 offset0:171 offset1:198
	v_pack_b32_f16 v2, v9, v13
	v_fmac_f16_e32 v12, v72, v20
	v_mul_f16_e32 v8, v73, v18
	s_wait_loadcnt 0x3
	v_lshrrev_b32_e32 v9, 16, v22
	v_fma_f16 v13, v71, v18, -v19
	v_mul_f16_e32 v18, v70, v22
	ds_store_2addr_b32 v4, v11, v2 offset0:59 offset1:86
	v_pack_b32_f16 v2, v12, v14
	s_wait_loadcnt 0x2
	v_lshrrev_b32_e32 v12, 16, v5
	v_mul_f16_e32 v11, v70, v9
	v_fma_f16 v9, v69, v9, -v18
	v_mul_f16_e32 v14, v68, v5
	s_wait_loadcnt 0x1
	v_lshrrev_b32_e32 v18, 16, v3
	s_wait_loadcnt 0x0
	v_lshrrev_b32_e32 v19, 16, v6
	v_mul_f16_e32 v20, v68, v12
	v_fmac_f16_e32 v8, v71, v21
	v_fma_f16 v12, v67, v12, -v14
	v_mul_f16_e32 v14, v66, v3
	v_mul_f16_e32 v21, v66, v18
	v_fmac_f16_e32 v11, v69, v22
	v_mul_f16_e32 v22, v65, v19
	v_mul_f16_e32 v23, v65, v6
	v_fmac_f16_e32 v20, v67, v5
	v_fma_f16 v5, v64, v18, -v14
	v_fmac_f16_e32 v21, v64, v3
	v_fmac_f16_e32 v22, v63, v6
	v_fma_f16 v3, v63, v19, -v23
	v_pack_b32_f16 v6, v8, v13
	v_pack_b32_f16 v8, v11, v9
	;; [unrolled: 1-line block ×5, first 2 shown]
	ds_store_2addr_b32 v62, v7, v2 offset0:54 offset1:81
	ds_store_b32 v62, v9 offset:432
	ds_store_2addr_b32 v62, v6, v5 offset0:225 offset1:252
	ds_store_2addr_b32 v4, v8, v3 offset0:113 offset1:140
	s_and_saveexec_b32 s6, vcc_lo
	s_cbranch_execz .LBB0_3
; %bb.2:
	v_add_co_u32 v0, s2, v0, s2
	s_wait_alu 0xf1ff
	v_add_co_ci_u32_e64 v1, s2, s3, v1, s2
	global_load_b32 v7, v[15:16], off offset:540
	v_add_co_u32 v2, s2, v0, s14
	s_wait_alu 0xf1ff
	v_add_co_ci_u32_e64 v3, s2, s15, v1, s2
	s_delay_alu instid0(VALU_DEP_2) | instskip(SKIP_1) | instid1(VALU_DEP_2)
	v_add_co_u32 v5, s2, v2, s14
	s_wait_alu 0xf1ff
	v_add_co_ci_u32_e64 v6, s2, s15, v3, s2
	global_load_b32 v8, v[15:16], off offset:1116
	global_load_b32 v0, v[0:1], off
	global_load_b32 v1, v[15:16], off offset:1692
	global_load_b32 v2, v[2:3], off
	global_load_b32 v3, v[5:6], off
	s_wait_loadcnt 0x5
	v_lshrrev_b32_e32 v5, 16, v7
	s_wait_loadcnt 0x4
	v_lshrrev_b32_e32 v6, 16, v8
	;; [unrolled: 2-line block ×3, first 2 shown]
	v_mul_f16_e32 v10, v5, v0
	s_wait_loadcnt 0x1
	v_lshrrev_b32_e32 v12, 16, v2
	v_lshrrev_b32_e32 v11, 16, v1
	s_wait_loadcnt 0x0
	v_lshrrev_b32_e32 v13, 16, v3
	v_mul_f16_e32 v5, v5, v9
	v_fma_f16 v9, v7, v9, -v10
	v_mul_f16_e32 v10, v6, v2
	v_mul_f16_e32 v6, v6, v12
	;; [unrolled: 1-line block ×4, first 2 shown]
	v_fmac_f16_e32 v5, v7, v0
	v_fma_f16 v0, v8, v12, -v10
	v_fmac_f16_e32 v6, v8, v2
	v_fmac_f16_e32 v14, v1, v3
	v_fma_f16 v1, v1, v13, -v11
	v_pack_b32_f16 v2, v5, v9
	v_add_nc_u32_e32 v3, 0x200, v62
	v_pack_b32_f16 v0, v6, v0
	s_delay_alu instid0(VALU_DEP_4)
	v_pack_b32_f16 v1, v14, v1
	ds_store_2addr_b32 v3, v2, v0 offset0:7 offset1:151
	ds_store_b32 v62, v1 offset:1692
.LBB0_3:
	s_wait_alu 0xfffe
	s_or_b32 exec_lo, exec_lo, s6
	global_wb scope:SCOPE_SE
	s_wait_dscnt 0x0
	s_wait_kmcnt 0x0
	s_barrier_signal -1
	s_barrier_wait -1
	global_inv scope:SCOPE_SE
	ds_load_2addr_b32 v[18:19], v62 offset1:27
	ds_load_2addr_b32 v[2:3], v62 offset0:108 offset1:144
	ds_load_2addr_b32 v[10:11], v4 offset0:32 offset1:59
	;; [unrolled: 1-line block ×6, first 2 shown]
	ds_load_b32 v20, v62 offset:1584
                                        ; implicit-def: $vgpr0
                                        ; implicit-def: $vgpr14
	s_and_saveexec_b32 s2, vcc_lo
	s_cbranch_execz .LBB0_5
; %bb.4:
	v_add_nc_u32_e32 v0, 0x200, v62
	ds_load_2addr_b32 v[0:1], v0 offset0:7 offset1:151
	ds_load_b32 v14, v62 offset:1692
.LBB0_5:
	s_wait_alu 0xfffe
	s_or_b32 exec_lo, exec_lo, s2
	s_wait_dscnt 0x0
	v_pk_add_f16 v21, v1, v14
	v_pk_add_f16 v23, v1, v14 neg_lo:[0,1] neg_hi:[0,1]
	s_load_b64 s[2:3], s[0:1], 0x8
	v_add_co_u32 v142, s0, v87, 27
	s_delay_alu instid0(VALU_DEP_3) | instskip(NEXT) | instid1(VALU_DEP_3)
	v_pk_fma_f16 v21, v21, 0.5, v0 op_sel_hi:[1,0,1] neg_lo:[1,0,0] neg_hi:[1,0,0]
	v_pk_mul_f16 v23, 0x3aee, v23 op_sel_hi:[0,1]
	s_wait_alu 0xf1ff
	v_add_co_ci_u32_e64 v22, null, 0, 0, s0
	v_add_co_u32 v141, s0, 0x51, v87
	s_wait_alu 0xf1ff
	v_add_co_ci_u32_e64 v24, null, 0, 0, s0
	v_pk_add_f16 v24, v18, v3
	v_pk_add_f16 v43, v21, v23 op_sel:[0,1] op_sel_hi:[1,0]
	v_pk_add_f16 v46, v21, v23 op_sel:[0,1] op_sel_hi:[1,0] neg_lo:[0,1] neg_hi:[0,1]
	v_mul_lo_u16 v21, v87, 3
	v_pk_add_f16 v23, v3, v10
	v_pk_add_f16 v3, v3, v10 neg_lo:[0,1] neg_hi:[0,1]
	v_pk_add_f16 v25, v19, v12
	v_add_co_u32 v140, null, v87, 54
	v_and_b32_e32 v21, 0xffff, v21
	v_pk_fma_f16 v18, v23, 0.5, v18 op_sel_hi:[1,0,1] neg_lo:[1,0,0] neg_hi:[1,0,0]
	v_pk_mul_f16 v3, 0x3aee, v3 op_sel_hi:[0,1]
	v_pk_add_f16 v23, v12, v11
	v_pk_add_f16 v12, v12, v11 neg_lo:[0,1] neg_hi:[0,1]
	v_lshl_add_u32 v98, v21, 2, v95
	v_pk_add_f16 v26, v8, v13
	v_pk_add_f16 v21, v18, v3 op_sel:[0,1] op_sel_hi:[1,0]
	v_pk_add_f16 v3, v18, v3 op_sel:[0,1] op_sel_hi:[1,0] neg_lo:[0,1] neg_hi:[0,1]
	v_pk_fma_f16 v18, v23, 0.5, v19 op_sel_hi:[1,0,1] neg_lo:[1,0,0] neg_hi:[1,0,0]
	v_pk_mul_f16 v12, 0x3aee, v12 op_sel_hi:[0,1]
	v_pk_add_f16 v10, v24, v10
	global_wb scope:SCOPE_SE
	v_bfi_b32 v23, 0xffff, v21, v3
	v_bfi_b32 v3, 0xffff, v3, v21
	v_pk_add_f16 v21, v18, v12 op_sel:[0,1] op_sel_hi:[1,0]
	v_pk_add_f16 v12, v18, v12 op_sel:[0,1] op_sel_hi:[1,0] neg_lo:[0,1] neg_hi:[0,1]
	v_pk_add_f16 v18, v13, v4
	v_pk_add_f16 v13, v13, v4 neg_lo:[0,1] neg_hi:[0,1]
	s_wait_kmcnt 0x0
	s_barrier_signal -1
	s_barrier_wait -1
	global_inv scope:SCOPE_SE
	v_mul_u32_u24_e32 v19, 3, v142
	v_pk_fma_f16 v8, v18, 0.5, v8 op_sel_hi:[1,0,1] neg_lo:[1,0,0] neg_hi:[1,0,0]
	v_pk_mul_f16 v13, 0x3aee, v13 op_sel_hi:[0,1]
	ds_store_2addr_b32 v98, v10, v23 offset1:1
	ds_store_b32 v98, v3 offset:8
	v_mul_u32_u24_e32 v3, 3, v140
	v_lshl_add_u32 v99, v19, 2, v95
	v_pk_add_f16 v11, v25, v11
	v_bfi_b32 v19, 0xffff, v21, v12
	v_pk_add_f16 v10, v8, v13 op_sel:[0,1] op_sel_hi:[1,0]
	v_pk_add_f16 v8, v8, v13 op_sel:[0,1] op_sel_hi:[1,0] neg_lo:[0,1] neg_hi:[0,1]
	v_lshl_add_u32 v97, v3, 2, v95
	v_pk_add_f16 v3, v26, v4
	v_pk_add_f16 v4, v6, v5
	v_bfi_b32 v12, 0xffff, v12, v21
	v_pk_add_f16 v27, v9, v6
	v_pk_add_f16 v6, v6, v5 neg_lo:[0,1] neg_hi:[0,1]
	v_pk_add_f16 v28, v2, v7
	ds_store_2addr_b32 v99, v11, v19 offset1:1
	ds_store_b32 v99, v12 offset:8
	v_bfi_b32 v11, 0xffff, v10, v8
	v_pk_fma_f16 v4, v4, 0.5, v9 op_sel_hi:[1,0,1] neg_lo:[1,0,0] neg_hi:[1,0,0]
	v_pk_add_f16 v9, v7, v20
	v_pk_add_f16 v7, v7, v20 neg_lo:[0,1] neg_hi:[0,1]
	v_bfi_b32 v8, 0xffff, v8, v10
	v_add_co_u32 v139, null, 0x6c, v87
	v_pk_mul_f16 v6, 0x3aee, v6 op_sel_hi:[0,1]
	ds_store_2addr_b32 v97, v3, v11 offset1:1
	ds_store_b32 v97, v8 offset:8
	v_pk_fma_f16 v2, v9, 0.5, v2 op_sel_hi:[1,0,1] neg_lo:[1,0,0] neg_hi:[1,0,0]
	v_pk_mul_f16 v3, 0x3aee, v7 op_sel_hi:[0,1]
	v_add_co_u32 v126, s0, 0x87, v87
	v_mul_u32_u24_e32 v10, 3, v141
	v_pk_add_f16 v7, v4, v6 op_sel:[0,1] op_sel_hi:[1,0]
	v_pk_add_f16 v4, v4, v6 op_sel:[0,1] op_sel_hi:[1,0] neg_lo:[0,1] neg_hi:[0,1]
	v_mul_u32_u24_e32 v6, 3, v139
	v_pk_add_f16 v8, v2, v3 op_sel:[0,1] op_sel_hi:[1,0]
	v_pk_add_f16 v2, v2, v3 op_sel:[0,1] op_sel_hi:[1,0] neg_lo:[0,1] neg_hi:[0,1]
	s_wait_alu 0xf1ff
	v_add_co_ci_u32_e64 v138, null, 0, 0, s0
	v_lshrrev_b32_e32 v47, 16, v43
	v_lshl_add_u32 v100, v10, 2, v95
	v_pk_add_f16 v5, v27, v5
	v_bfi_b32 v3, 0xffff, v7, v4
	v_lshl_add_u32 v102, v6, 2, v95
	v_mul_u32_u24_e32 v101, 3, v126
	v_bfi_b32 v4, 0xffff, v4, v7
	v_pk_add_f16 v6, v28, v20
	v_bfi_b32 v7, 0xffff, v8, v2
	v_bfi_b32 v2, 0xffff, v2, v8
	ds_store_2addr_b32 v100, v5, v3 offset1:1
	ds_store_b32 v100, v4 offset:8
	ds_store_2addr_b32 v102, v6, v7 offset1:1
	ds_store_b32 v102, v2 offset:8
	s_and_saveexec_b32 s0, vcc_lo
	s_cbranch_execz .LBB0_7
; %bb.6:
	v_pk_add_f16 v0, v1, v0
	v_lshl_add_u32 v1, v101, 2, v95
	v_bfi_b32 v2, 0xffff, v43, v46
	v_perm_b32 v3, v47, v46, 0x5040100
	s_delay_alu instid0(VALU_DEP_4)
	v_pk_add_f16 v0, v14, v0
	ds_store_b32 v1, v0
	ds_store_2addr_b32 v1, v2, v3 offset0:1 offset1:2
.LBB0_7:
	s_wait_alu 0xfffe
	s_or_b32 exec_lo, exec_lo, s0
	v_and_b32_e32 v0, 0xff, v87
	global_wb scope:SCOPE_SE
	s_wait_dscnt 0x0
	s_barrier_signal -1
	s_barrier_wait -1
	global_inv scope:SCOPE_SE
	v_mul_lo_u16 v0, 0xab, v0
	v_add_nc_u32_e32 v37, 0x400, v62
	s_delay_alu instid0(VALU_DEP_2) | instskip(NEXT) | instid1(VALU_DEP_1)
	v_lshrrev_b16 v35, 9, v0
	v_mul_lo_u16 v0, v35, 3
	v_and_b32_e32 v35, 0xffff, v35
	s_delay_alu instid0(VALU_DEP_2) | instskip(NEXT) | instid1(VALU_DEP_2)
	v_sub_nc_u16 v0, v87, v0
	v_mul_u32_u24_e32 v35, 48, v35
	s_delay_alu instid0(VALU_DEP_2) | instskip(NEXT) | instid1(VALU_DEP_1)
	v_and_b32_e32 v36, 0xff, v0
	v_mad_co_u64_u32 v[12:13], null, v36, 60, s[2:3]
	s_delay_alu instid0(VALU_DEP_3)
	v_or_b32_e32 v35, v35, v36
	s_clause 0x3
	global_load_b128 v[8:11], v[12:13], off
	global_load_b128 v[4:7], v[12:13], off offset:16
	global_load_b128 v[0:3], v[12:13], off offset:32
	global_load_b96 v[12:14], v[12:13], off offset:48
	ds_load_2addr_b32 v[18:19], v62 offset1:27
	ds_load_2addr_b32 v[20:21], v62 offset0:54 offset1:81
	ds_load_2addr_b32 v[23:24], v62 offset0:108 offset1:135
	;; [unrolled: 1-line block ×7, first 2 shown]
	v_lshl_add_u32 v96, v35, 2, v95
	global_wb scope:SCOPE_SE
	s_wait_loadcnt_dscnt 0x0
	s_barrier_signal -1
	s_barrier_wait -1
	global_inv scope:SCOPE_SE
	v_lshrrev_b32_e32 v39, 16, v19
	v_lshrrev_b32_e32 v40, 16, v20
	;; [unrolled: 1-line block ×31, first 2 shown]
	v_mul_f16_e32 v35, v39, v123
	v_mul_f16_e32 v56, v19, v123
	;; [unrolled: 1-line block ×14, first 2 shown]
	v_mul_f16_e64 v128, v49, v116
	v_mul_f16_e64 v129, v27, v116
	;; [unrolled: 1-line block ×16, first 2 shown]
	v_fma_f16 v20, v20, v9, -v57
	v_fma_f16 v21, v21, v10, -v59
	v_fma_f16 v23, v23, v11, -v61
	v_fma_f16 v24, v24, v4, -v105
	v_fmac_f16_e32 v56, v39, v8
	v_fmac_f16_e32 v58, v40, v9
	;; [unrolled: 1-line block ×4, first 2 shown]
	v_fma_f16 v19, v19, v8, -v35
	v_fmac_f16_e32 v106, v44, v4
	v_fma_f16 v25, v25, v5, -v107
	v_fmac_f16_e32 v109, v45, v5
	;; [unrolled: 2-line block ×3, first 2 shown]
	v_fma_f16 v27, v27, v7, -v128
	v_fmac_f16_e64 v129, v49, v7
	v_fma_f16 v28, v28, v0, -v130
	v_fmac_f16_e64 v131, v50, v0
	;; [unrolled: 2-line block ×8, first 2 shown]
	v_sub_f16_e32 v27, v18, v27
	v_sub_f16_e64 v35, v38, v129
	v_sub_f16_e32 v31, v23, v31
	v_sub_f16_e64 v36, v103, v137
	;; [unrolled: 2-line block ×8, first 2 shown]
	v_fma_f16 v38, v38, 2.0, -v35
	v_fma_f16 v23, v23, 2.0, -v31
	;; [unrolled: 1-line block ×12, first 2 shown]
	v_sub_f16_e32 v36, v27, v36
	v_add_f16_e32 v31, v35, v31
	v_sub_f16_e32 v40, v29, v40
	v_add_f16_e32 v33, v39, v33
	;; [unrolled: 2-line block ×4, first 2 shown]
	v_fma_f16 v18, v18, 2.0, -v27
	v_fma_f16 v20, v20, 2.0, -v29
	;; [unrolled: 1-line block ×4, first 2 shown]
	v_sub_f16_e32 v48, v38, v48
	v_fma_f16 v27, v27, 2.0, -v36
	v_fma_f16 v35, v35, 2.0, -v31
	v_sub_f16_e32 v50, v49, v50
	v_fma_f16 v29, v29, 2.0, -v40
	v_fma_f16 v39, v39, 2.0, -v33
	;; [unrolled: 3-line block ×4, first 2 shown]
	v_fmamk_f16 v55, v40, 0x39a8, v36
	v_fmamk_f16 v56, v33, 0x39a8, v31
	v_sub_f16_e32 v23, v18, v23
	v_sub_f16_e32 v25, v20, v25
	;; [unrolled: 1-line block ×4, first 2 shown]
	v_fmamk_f16 v57, v45, 0x39a8, v42
	v_fmamk_f16 v58, v34, 0x39a8, v32
	v_fma_f16 v38, v38, 2.0, -v48
	v_fma_f16 v49, v49, 2.0, -v50
	;; [unrolled: 1-line block ×4, first 2 shown]
	v_fmamk_f16 v59, v29, 0xb9a8, v27
	v_fmamk_f16 v60, v39, 0xb9a8, v35
	v_fmac_f16_e32 v55, 0xb9a8, v33
	v_fmac_f16_e32 v56, 0x39a8, v40
	v_fmamk_f16 v33, v30, 0xb9a8, v28
	v_fmamk_f16 v40, v44, 0xb9a8, v41
	v_fma_f16 v20, v20, 2.0, -v25
	v_fma_f16 v21, v21, 2.0, -v26
	v_sub_f16_e32 v50, v23, v50
	v_add_f16_e32 v25, v48, v25
	v_sub_f16_e32 v54, v24, v54
	v_add_f16_e32 v26, v52, v26
	v_fmac_f16_e32 v57, 0xb9a8, v34
	v_fmac_f16_e32 v58, 0x39a8, v45
	v_fma_f16 v18, v18, 2.0, -v23
	v_fma_f16 v19, v19, 2.0, -v24
	v_sub_f16_e32 v34, v38, v49
	v_fmac_f16_e32 v59, 0xb9a8, v39
	v_fmac_f16_e32 v60, 0x39a8, v29
	v_sub_f16_e32 v39, v51, v53
	v_fmac_f16_e32 v33, 0xb9a8, v44
	v_fmac_f16_e32 v40, 0x39a8, v30
	v_fma_f16 v23, v23, 2.0, -v50
	v_fma_f16 v29, v48, 2.0, -v25
	;; [unrolled: 1-line block ×8, first 2 shown]
	v_sub_f16_e32 v20, v18, v20
	v_sub_f16_e32 v21, v19, v21
	v_fmamk_f16 v45, v54, 0x39a8, v50
	v_fmamk_f16 v48, v26, 0x39a8, v25
	;; [unrolled: 1-line block ×3, first 2 shown]
	v_fma_f16 v147, 0x3b64, v58, v56
	v_fma_f16 v38, v38, 2.0, -v34
	v_fma_f16 v27, v27, 2.0, -v59
	;; [unrolled: 1-line block ×6, first 2 shown]
	v_fmamk_f16 v51, v24, 0xb9a8, v23
	v_fmamk_f16 v52, v30, 0xb9a8, v29
	v_fmamk_f16 v53, v44, 0xb61f, v36
	v_fmamk_f16 v61, v32, 0xb61f, v31
	v_fmamk_f16 v103, v33, 0x361f, v59
	v_fmamk_f16 v105, v40, 0x361f, v60
	v_fma_f16 v19, v19, 2.0, -v21
	v_sub_f16_e32 v39, v20, v39
	v_add_f16_e32 v21, v34, v21
	v_fmac_f16_e32 v45, 0xb9a8, v26
	v_fmac_f16_e32 v48, 0x39a8, v54
	;; [unrolled: 1-line block ×3, first 2 shown]
	v_fmac_f16_e64 v147, 0x361f, v57
	v_fma_f16 v18, v18, 2.0, -v20
	v_sub_f16_e32 v26, v38, v49
	v_fmamk_f16 v49, v28, 0xbb64, v27
	v_fmamk_f16 v54, v41, 0xbb64, v35
	v_fmac_f16_e32 v51, 0xb9a8, v30
	v_fmac_f16_e32 v52, 0x39a8, v24
	;; [unrolled: 1-line block ×6, first 2 shown]
	v_fma_f16 v20, v20, 2.0, -v39
	v_fma_f16 v24, v34, 2.0, -v21
	;; [unrolled: 1-line block ×6, first 2 shown]
	v_sub_f16_e32 v19, v18, v19
	v_fmac_f16_e32 v49, 0xb61f, v41
	v_fmac_f16_e32 v54, 0x361f, v28
	v_fma_f16 v23, v23, 2.0, -v51
	v_fma_f16 v28, v29, 2.0, -v52
	;; [unrolled: 1-line block ×6, first 2 shown]
	v_pack_b32_f16 v20, v20, v24
	v_pack_b32_f16 v24, v30, v25
	;; [unrolled: 1-line block ×3, first 2 shown]
	v_fma_f16 v18, v18, 2.0, -v19
	v_fma_f16 v38, v38, 2.0, -v26
	v_fma_f16 v27, v27, 2.0, -v49
	v_fma_f16 v33, v35, 2.0, -v54
	v_pack_b32_f16 v21, v39, v21
	v_pack_b32_f16 v34, v45, v48
	;; [unrolled: 1-line block ×10, first 2 shown]
	ds_store_2addr_b32 v96, v24, v25 offset0:18 offset1:21
	v_pack_b32_f16 v24, v49, v54
	v_pack_b32_f16 v18, v18, v38
	;; [unrolled: 1-line block ×3, first 2 shown]
	ds_store_2addr_b32 v96, v34, v39 offset0:42 offset1:45
	ds_store_2addr_b32 v96, v26, v30 offset0:30 offset1:33
	;; [unrolled: 1-line block ×6, first 2 shown]
	ds_store_2addr_b32 v96, v18, v25 offset1:3
	global_wb scope:SCOPE_SE
	s_wait_dscnt 0x0
	s_barrier_signal -1
	s_barrier_wait -1
	global_inv scope:SCOPE_SE
	ds_load_2addr_b32 v[34:35], v62 offset1:27
	ds_load_2addr_b32 v[20:21], v62 offset0:108 offset1:144
	ds_load_2addr_b32 v[44:45], v37 offset0:32 offset1:59
	;; [unrolled: 1-line block ×6, first 2 shown]
	ds_load_b32 v48, v62 offset:1584
	v_lshrrev_b32_e32 v49, 16, v46
	s_and_saveexec_b32 s0, vcc_lo
	s_cbranch_execz .LBB0_9
; %bb.8:
	v_add_nc_u32_e32 v18, 0x200, v62
	ds_load_2addr_b32 v[42:43], v18 offset0:7 offset1:151
	ds_load_b32 v46, v62 offset:1692
	s_wait_dscnt 0x1
	v_lshrrev_b32_e32 v147, 16, v42
	v_lshrrev_b32_e32 v49, 16, v43
	s_wait_dscnt 0x0
	v_lshrrev_b32_e32 v47, 16, v46
.LBB0_9:
	s_wait_alu 0xfffe
	s_or_b32 exec_lo, exec_lo, s0
	v_add_co_u32 v23, s0, 0xffffffeb, v87
	s_wait_alu 0xf1ff
	v_add_co_ci_u32_e64 v24, null, 0, -1, s0
	v_cmp_gt_u16_e64 s0, 21, v87
	v_lshlrev_b32_e32 v52, 3, v87
	v_and_b32_e32 v25, 0xff, v139
	v_and_b32_e32 v28, 0xff, v126
	s_wait_dscnt 0x6
	v_lshrrev_b32_e32 v57, 16, v21
	s_wait_alu 0xf1ff
	v_cndmask_b32_e64 v51, v24, v22, s0
	v_cndmask_b32_e64 v50, v23, v142, s0
	v_and_b32_e32 v24, 0xff, v141
	global_load_b64 v[18:19], v52, s[2:3] offset:180
	s_wait_dscnt 0x5
	v_lshrrev_b32_e32 v58, 16, v44
	s_wait_dscnt 0x4
	v_lshrrev_b32_e32 v125, 16, v40
	v_lshlrev_b64_e32 v[22:23], 3, v[50:51]
	v_mul_lo_u16 v24, 0xab, v24
	v_add_nc_u32_e32 v51, 6, v87
	v_lshrrev_b32_e32 v127, 16, v45
	s_wait_dscnt 0x2
	v_lshrrev_b32_e32 v132, 16, v38
	v_lshrrev_b32_e32 v129, 16, v41
	v_add_co_u32 v22, s0, s2, v22
	s_wait_alu 0xf1ff
	v_add_co_ci_u32_e64 v23, s0, s3, v23, s0
	v_lshrrev_b16 v53, 13, v24
	v_lshlrev_b32_e32 v26, 3, v51
	v_cmp_lt_u16_e64 s0, 20, v87
	global_load_b64 v[30:31], v[22:23], off offset:180
	v_mul_lo_u16 v22, 0xab, v25
	v_mul_lo_u16 v23, 0xab, v28
	;; [unrolled: 1-line block ×3, first 2 shown]
	global_load_b64 v[26:27], v26, s[2:3] offset:180
	s_wait_alu 0xf1ff
	v_cndmask_b32_e64 v60, 0, 0x90, s0
	v_lshrrev_b16 v22, 13, v22
	v_lshrrev_b16 v23, 13, v23
	v_sub_nc_u16 v24, v141, v24
	v_and_b32_e32 v53, 0xffff, v53
	v_add_nc_u32_e32 v50, v50, v60
	v_mul_lo_u16 v22, v22, 48
	v_mul_lo_u16 v23, v23, 48
	v_and_b32_e32 v54, 0xff, v24
	v_mul_u32_u24_e32 v53, 0x90, v53
	v_add_co_u32 v60, s0, s2, v52
	v_sub_nc_u16 v22, v139, v22
	v_sub_nc_u16 v23, v126, v23
	v_lshl_add_u32 v106, v51, 2, v95
	v_lshl_add_u32 v107, v50, 2, v95
	v_add_nc_u32_e32 v50, v53, v54
	v_and_b32_e32 v55, 0xff, v22
	v_and_b32_e32 v103, 0xff, v23
	v_lshlrev_b32_e32 v22, 3, v54
	v_lshrrev_b32_e32 v59, 16, v35
	v_lshrrev_b32_e32 v143, 16, v32
	v_lshlrev_b32_e32 v23, 3, v55
	v_lshlrev_b32_e32 v56, 3, v103
	s_clause 0x2
	global_load_b64 v[28:29], v22, s[2:3] offset:180
	global_load_b64 v[24:25], v23, s[2:3] offset:180
	;; [unrolled: 1-line block ×3, first 2 shown]
	v_lshrrev_b32_e32 v56, 16, v34
	v_lshl_add_u32 v105, v55, 2, v95
	s_wait_dscnt 0x1
	v_lshrrev_b32_e32 v145, 16, v36
	v_lshrrev_b32_e32 v146, 16, v39
	;; [unrolled: 1-line block ×3, first 2 shown]
	s_wait_dscnt 0x0
	v_lshrrev_b32_e32 v150, 16, v48
	global_wb scope:SCOPE_SE
	s_wait_loadcnt 0x0
	s_barrier_signal -1
	s_barrier_wait -1
	global_inv scope:SCOPE_SE
	v_lshrrev_b32_e32 v144, 16, v33
	v_lshrrev_b32_e32 v149, 16, v20
	s_wait_alu 0xf1ff
	v_add_co_ci_u32_e64 v61, null, s3, 0, s0
	v_lshl_add_u32 v109, v50, 2, v95
	v_add_nc_u32_e32 v50, 0x400, v105
	v_lshrrev_b32_e32 v133, 16, v18
	v_lshrrev_b32_e32 v130, 16, v19
	s_delay_alu instid0(VALU_DEP_2) | instskip(SKIP_1) | instid1(VALU_DEP_3)
	v_mul_f16_e64 v51, v57, v133
	v_mul_f16_e64 v52, v21, v133
	;; [unrolled: 1-line block ×4, first 2 shown]
	s_delay_alu instid0(VALU_DEP_4) | instskip(NEXT) | instid1(VALU_DEP_4)
	v_fma_f16 v21, v21, v18, -v51
	v_fmac_f16_e32 v52, v57, v18
	s_delay_alu instid0(VALU_DEP_4) | instskip(NEXT) | instid1(VALU_DEP_4)
	v_fma_f16 v44, v44, v19, -v53
	v_fmac_f16_e32 v54, v58, v19
	s_delay_alu instid0(VALU_DEP_4) | instskip(NEXT) | instid1(VALU_DEP_4)
	v_add_f16_e32 v51, v34, v21
	v_add_f16_e32 v57, v56, v52
	s_delay_alu instid0(VALU_DEP_4) | instskip(NEXT) | instid1(VALU_DEP_4)
	v_add_f16_e32 v53, v21, v44
	v_sub_f16_e32 v55, v52, v54
	v_add_f16_e32 v52, v52, v54
	v_lshrrev_b32_e32 v136, 16, v30
	v_lshrrev_b32_e32 v134, 16, v31
	;; [unrolled: 1-line block ×4, first 2 shown]
	v_sub_f16_e32 v21, v21, v44
	v_add_f16_e32 v44, v51, v44
	v_fma_f16 v34, -0.5, v53, v34
	v_add_f16_e32 v51, v57, v54
	v_fmac_f16_e32 v56, -0.5, v52
	v_mul_f16_e64 v52, v125, v136
	v_mul_f16_e64 v53, v40, v136
	;; [unrolled: 1-line block ×8, first 2 shown]
	v_fma_f16 v153, 0x3aee, v55, v34
	v_fmac_f16_e32 v34, 0xbaee, v55
	v_fmamk_f16 v55, v21, 0xbaee, v56
	v_fmac_f16_e32 v56, 0x3aee, v21
	v_pack_b32_f16 v21, v44, v51
	v_fma_f16 v40, v40, v30, -v52
	v_fmac_f16_e32 v53, v125, v30
	v_fma_f16 v44, v45, v31, -v54
	v_fmac_f16_e32 v57, v127, v31
	v_fmac_f16_e64 v151, v129, v26
	v_fma_f16 v38, v38, v27, -v135
	v_fmac_f16_e64 v152, v132, v27
	v_lshrrev_b32_e32 v137, 16, v28
	v_lshrrev_b32_e32 v135, 16, v29
	;; [unrolled: 1-line block ×4, first 2 shown]
	v_fma_f16 v41, v41, v26, -v58
	v_lshrrev_b32_e32 v127, 16, v22
	v_lshrrev_b32_e32 v125, 16, v23
	v_pack_b32_f16 v45, v153, v55
	v_add_f16_e32 v52, v40, v44
	v_sub_f16_e32 v54, v53, v57
	v_add_f16_e32 v55, v59, v53
	v_add_f16_e32 v53, v53, v57
	v_sub_f16_e64 v153, v151, v152
	v_add_f16_e64 v154, v143, v151
	v_add_f16_e64 v151, v151, v152
	v_mul_f16_e64 v155, v145, v137
	v_mul_f16_e64 v156, v36, v137
	;; [unrolled: 1-line block ×8, first 2 shown]
	v_pack_b32_f16 v34, v34, v56
	v_add_f16_e32 v58, v41, v38
	v_add_f16_e32 v51, v35, v40
	v_sub_f16_e32 v40, v40, v44
	v_add_f16_e32 v56, v32, v41
	v_sub_f16_e32 v41, v41, v38
	v_mul_f16_e64 v163, v49, v127
	v_mul_f16_e64 v164, v43, v127
	;; [unrolled: 1-line block ×4, first 2 shown]
	v_fmac_f16_e32 v35, -0.5, v52
	v_fmac_f16_e32 v59, -0.5, v53
	v_fmac_f16_e64 v143, -0.5, v151
	v_fma_f16 v36, v36, v28, -v155
	v_fmac_f16_e64 v156, v145, v28
	v_fma_f16 v39, v39, v29, -v157
	v_fmac_f16_e64 v158, v146, v29
	ds_store_2addr_b32 v62, v21, v45 offset1:48
	ds_store_b32 v62, v34 offset:384
	v_fma_f16 v37, v37, v24, -v159
	v_fmac_f16_e64 v160, v148, v24
	v_fma_f16 v45, v48, v25, -v161
	v_fmac_f16_e64 v162, v150, v25
	v_fma_f16 v32, -0.5, v58, v32
	v_add_f16_e32 v21, v51, v44
	v_add_f16_e32 v34, v55, v57
	;; [unrolled: 1-line block ×3, first 2 shown]
	v_add_f16_e64 v44, v154, v152
	v_fma_f16 v43, v43, v22, -v163
	v_fmac_f16_e64 v164, v49, v22
	v_fma_f16 v46, v46, v23, -v165
	v_fmac_f16_e64 v166, v47, v23
	v_fmamk_f16 v47, v54, 0x3aee, v35
	v_fmamk_f16 v48, v40, 0xbaee, v59
	v_fma_f16 v49, 0xbaee, v41, v143
	v_fmac_f16_e64 v143, 0x3aee, v41
	v_add_f16_e32 v41, v36, v39
	v_add_f16_e64 v52, v156, v158
	v_fmac_f16_e32 v35, 0xbaee, v54
	v_fmac_f16_e32 v59, 0x3aee, v40
	v_add_f16_e32 v54, v37, v45
	v_add_f16_e64 v57, v160, v162
	v_fma_f16 v40, 0x3aee, v153, v32
	v_fmac_f16_e64 v32, 0xbaee, v153
	v_pack_b32_f16 v21, v21, v34
	v_pack_b32_f16 v34, v38, v44
	v_add_f16_e32 v38, v33, v36
	v_sub_f16_e64 v51, v156, v158
	v_add_f16_e64 v44, v144, v156
	v_sub_f16_e32 v36, v36, v39
	v_add_f16_e32 v58, v42, v43
	v_add_f16_e64 v145, v43, v46
	v_add_f16_e64 v150, v164, v166
	v_sub_f16_e64 v151, v43, v46
	v_pack_b32_f16 v43, v47, v48
	v_fmac_f16_e32 v33, -0.5, v41
	v_fmac_f16_e64 v144, -0.5, v52
	v_pack_b32_f16 v35, v35, v59
	v_add_f16_e32 v53, v20, v37
	v_sub_f16_e64 v55, v160, v162
	v_add_f16_e64 v56, v149, v160
	v_sub_f16_e32 v37, v37, v45
	v_fmac_f16_e32 v20, -0.5, v54
	v_fmac_f16_e64 v149, -0.5, v57
	v_pack_b32_f16 v40, v40, v49
	v_pack_b32_f16 v32, v32, v143
	v_sub_f16_e64 v146, v164, v166
	v_add_f16_e64 v148, v147, v164
	v_add_f16_e32 v38, v38, v39
	v_add_f16_e64 v39, v44, v158
	v_fmac_f16_e64 v42, -0.5, v145
	v_fmac_f16_e64 v147, -0.5, v150
	ds_store_2addr_b32 v107, v21, v43 offset1:48
	ds_store_b32 v107, v35 offset:384
	ds_store_b32 v62, v34 offset:600
	;; [unrolled: 1-line block ×4, first 2 shown]
	v_fmamk_f16 v21, v51, 0x3aee, v33
	v_fma_f16 v32, 0xbaee, v36, v144
	v_fmac_f16_e32 v33, 0xbaee, v51
	v_fmac_f16_e64 v144, 0x3aee, v36
	v_add_f16_e32 v41, v53, v45
	v_add_f16_e64 v47, v56, v162
	v_fmamk_f16 v34, v55, 0x3aee, v20
	v_fma_f16 v35, 0xbaee, v37, v149
	v_fmac_f16_e32 v20, 0xbaee, v55
	v_fmac_f16_e64 v149, 0x3aee, v37
	v_add_f16_e32 v44, v58, v46
	v_add_f16_e64 v148, v148, v166
	v_fma_f16 v45, 0x3aee, v146, v42
	v_fmac_f16_e64 v42, 0xbaee, v146
	v_fma_f16 v43, 0xbaee, v151, v147
	v_pack_b32_f16 v36, v38, v39
	v_pack_b32_f16 v21, v21, v32
	v_fmac_f16_e64 v147, 0x3aee, v151
	v_pack_b32_f16 v32, v33, v144
	v_pack_b32_f16 v37, v41, v47
	v_pack_b32_f16 v33, v34, v35
	v_pack_b32_f16 v20, v20, v149
	ds_store_2addr_b32 v109, v36, v21 offset1:48
	ds_store_b32 v109, v32 offset:384
	ds_store_2addr_b32 v50, v37, v33 offset0:32 offset1:80
	ds_store_b32 v105, v20 offset:1536
	s_and_saveexec_b32 s0, vcc_lo
	s_cbranch_execz .LBB0_11
; %bb.10:
	v_lshl_add_u32 v20, v103, 2, v95
	v_perm_b32 v21, v148, v44, 0x5040100
	v_perm_b32 v32, v43, v45, 0x5040100
	;; [unrolled: 1-line block ×3, first 2 shown]
	s_delay_alu instid0(VALU_DEP_4)
	v_add_nc_u32_e32 v33, 0x400, v20
	ds_store_2addr_b32 v33, v21, v32 offset0:32 offset1:80
	ds_store_b32 v20, v34 offset:1536
.LBB0_11:
	s_wait_alu 0xfffe
	s_or_b32 exec_lo, exec_lo, s0
	v_add_nc_u32_e32 v149, 0x400, v62
	global_wb scope:SCOPE_SE
	s_wait_dscnt 0x0
	s_barrier_signal -1
	s_barrier_wait -1
	global_inv scope:SCOPE_SE
	ds_load_2addr_b32 v[48:49], v62 offset1:27
	ds_load_2addr_b32 v[46:47], v62 offset0:108 offset1:144
	ds_load_2addr_b32 v[58:59], v149 offset0:32 offset1:59
	;; [unrolled: 1-line block ×6, first 2 shown]
	ds_load_b32 v150, v62 offset:1584
	s_and_saveexec_b32 s0, vcc_lo
	s_cbranch_execz .LBB0_13
; %bb.12:
	v_add_nc_u32_e32 v20, 0x200, v62
	ds_load_2addr_b32 v[44:45], v20 offset0:7 offset1:151
	ds_load_b32 v42, v62 offset:1692
	s_wait_dscnt 0x1
	v_lshrrev_b32_e32 v148, 16, v44
	v_lshrrev_b32_e32 v43, 16, v45
	s_wait_dscnt 0x0
	v_lshrrev_b32_e32 v147, 16, v42
.LBB0_13:
	s_wait_alu 0xfffe
	s_or_b32 exec_lo, exec_lo, s0
	v_lshlrev_b32_e32 v20, 3, v142
	v_lshlrev_b32_e32 v21, 3, v140
	;; [unrolled: 1-line block ×3, first 2 shown]
	global_load_b64 v[32:33], v[60:61], off offset:564
	s_wait_dscnt 0x5
	v_lshrrev_b32_e32 v151, 16, v58
	global_load_b64 v[38:39], v20, s[2:3] offset:564
	v_lshlrev_b32_e32 v20, 3, v139
	v_lshrrev_b32_e32 v61, 16, v47
	s_clause 0x2
	global_load_b64 v[40:41], v21, s[2:3] offset:564
	global_load_b64 v[36:37], v34, s[2:3] offset:564
	;; [unrolled: 1-line block ×3, first 2 shown]
	v_add_co_u32 v20, s0, v87, -9
	s_wait_alu 0xf1ff
	v_add_co_ci_u32_e64 v21, null, 0, -1, s0
	s_wait_dscnt 0x4
	v_lshrrev_b32_e32 v153, 16, v56
	v_cndmask_b32_e32 v20, v20, v126, vcc_lo
	v_lshrrev_b32_e32 v154, 16, v59
	v_cndmask_b32_e32 v21, v21, v138, vcc_lo
	v_lshl_add_u32 v138, v124, 2, v104
	v_lshrrev_b32_e32 v156, 16, v57
	s_wait_dscnt 0x2
	v_lshrrev_b32_e32 v157, 16, v54
	v_lshrrev_b32_e32 v60, 16, v48
	v_lshlrev_b64_e32 v[20:21], 3, v[20:21]
	s_wait_dscnt 0x1
	v_lshrrev_b32_e32 v159, 16, v52
	v_lshrrev_b32_e32 v160, 16, v55
	;; [unrolled: 1-line block ×3, first 2 shown]
	s_wait_dscnt 0x0
	v_lshrrev_b32_e32 v162, 16, v150
	v_lshrrev_b32_e32 v152, 16, v49
	v_add_co_u32 v20, s0, s2, v20
	s_wait_alu 0xf1ff
	v_add_co_ci_u32_e64 v21, s0, s3, v21, s0
	v_lshrrev_b32_e32 v161, 16, v46
	v_lshrrev_b32_e32 v155, 16, v50
	;; [unrolled: 1-line block ×3, first 2 shown]
	global_load_b64 v[20:21], v[20:21], off offset:564
	v_add_nc_u32_e32 v163, 0x300, v138
	s_wait_loadcnt 0x5
	v_lshrrev_b32_e32 v126, 16, v32
	v_lshrrev_b32_e32 v124, 16, v33
	s_wait_loadcnt 0x4
	v_lshrrev_b32_e32 v146, 16, v38
	v_lshrrev_b32_e32 v145, 16, v39
	s_wait_loadcnt 0x3
	v_lshrrev_b32_e32 v144, 16, v40
	v_mul_f16_e64 v164, v61, v126
	v_mul_f16_e64 v165, v47, v126
	;; [unrolled: 1-line block ×4, first 2 shown]
	v_lshrrev_b32_e32 v143, 16, v41
	s_wait_loadcnt 0x1
	v_lshrrev_b32_e32 v140, 16, v34
	v_lshrrev_b32_e32 v139, 16, v35
	;; [unrolled: 1-line block ×4, first 2 shown]
	v_fma_f16 v47, v47, v32, -v164
	v_fmac_f16_e64 v165, v61, v32
	v_fma_f16 v58, v58, v33, -v166
	v_fmac_f16_e64 v167, v151, v33
	v_mul_f16_e64 v61, v153, v146
	v_mul_f16_e64 v151, v56, v146
	;; [unrolled: 1-line block ×16, first 2 shown]
	v_fma_f16 v56, v56, v38, -v61
	v_fmac_f16_e64 v151, v153, v38
	v_fma_f16 v59, v59, v39, -v164
	v_fmac_f16_e64 v166, v154, v39
	;; [unrolled: 2-line block ×4, first 2 shown]
	v_fmac_f16_e64 v177, v104, v34
	v_fmac_f16_e64 v179, v162, v35
	v_add_f16_e32 v61, v48, v47
	v_add_f16_e32 v104, v47, v58
	v_add_f16_e64 v154, v60, v165
	v_add_f16_e64 v156, v165, v167
	v_fma_f16 v52, v52, v36, -v172
	v_fmac_f16_e64 v173, v159, v36
	v_fma_f16 v55, v55, v37, -v174
	v_fmac_f16_e64 v175, v160, v37
	v_fma_f16 v53, v53, v34, -v176
	v_fma_f16 v150, v150, v35, -v178
	v_sub_f16_e64 v153, v165, v167
	v_sub_f16_e32 v47, v47, v58
	v_add_f16_e32 v58, v61, v58
	v_fma_f16 v48, -0.5, v104, v48
	v_add_f16_e64 v154, v154, v167
	v_fmac_f16_e64 v60, -0.5, v156
	v_add_f16_e64 v156, v49, v56
	v_add_f16_e64 v157, v56, v59
	v_sub_f16_e64 v159, v151, v166
	v_add_f16_e64 v160, v152, v151
	v_add_f16_e64 v151, v151, v166
	;; [unrolled: 1-line block ×5, first 2 shown]
	v_sub_f16_e64 v180, v177, v179
	v_add_f16_e64 v181, v161, v177
	v_add_f16_e64 v177, v177, v179
	s_wait_loadcnt 0x0
	v_lshrrev_b32_e32 v104, 16, v20
	v_lshrrev_b32_e32 v61, 16, v21
	v_sub_f16_e32 v56, v56, v59
	v_sub_f16_e64 v165, v169, v171
	v_add_f16_e64 v167, v155, v169
	v_sub_f16_e32 v57, v57, v54
	v_add_f16_e64 v170, v52, v55
	v_sub_f16_e64 v172, v173, v175
	v_add_f16_e64 v174, v158, v173
	v_add_f16_e64 v173, v173, v175
	v_add_f16_e64 v176, v46, v53
	v_add_f16_e64 v178, v53, v150
	v_sub_f16_e64 v53, v53, v150
	v_fma_f16 v182, 0x3aee, v153, v48
	v_fmac_f16_e64 v48, 0xbaee, v153
	v_fma_f16 v153, 0xbaee, v47, v60
	v_fmac_f16_e32 v60, 0x3aee, v47
	v_add_f16_e64 v47, v156, v59
	v_fmac_f16_e64 v49, -0.5, v157
	v_add_f16_e64 v59, v160, v166
	v_fmac_f16_e64 v152, -0.5, v151
	v_add_f16_e64 v54, v162, v54
	v_fma_f16 v50, -0.5, v164, v50
	v_fmac_f16_e64 v155, -0.5, v168
	v_fmac_f16_e64 v161, -0.5, v177
	v_pack_b32_f16 v58, v58, v154
	v_mul_f16_e64 v154, v43, v104
	v_mul_f16_e64 v160, v45, v104
	;; [unrolled: 1-line block ×4, first 2 shown]
	v_add_f16_e64 v169, v51, v52
	v_sub_f16_e32 v52, v52, v55
	v_fmac_f16_e64 v51, -0.5, v170
	v_fmac_f16_e64 v158, -0.5, v173
	;; [unrolled: 1-line block ×3, first 2 shown]
	v_fma_f16 v166, 0x3aee, v159, v49
	v_fmac_f16_e64 v49, 0xbaee, v159
	v_fma_f16 v159, 0xbaee, v56, v152
	v_fmac_f16_e64 v152, 0x3aee, v56
	;; [unrolled: 2-line block ×3, first 2 shown]
	v_fma_f16 v165, 0xbaee, v57, v155
	v_fma_f16 v168, 0xbaee, v53, v161
	v_fmac_f16_e64 v161, 0x3aee, v53
	v_pack_b32_f16 v53, v182, v153
	v_fma_f16 v45, v45, v20, -v154
	v_fmac_f16_e64 v160, v43, v20
	v_fma_f16 v42, v42, v21, -v162
	v_fmac_f16_e64 v164, v147, v21
	v_pack_b32_f16 v48, v48, v60
	v_pack_b32_f16 v47, v47, v59
	v_add_f16_e64 v151, v167, v171
	v_fmac_f16_e64 v155, 0x3aee, v57
	v_fma_f16 v57, 0x3aee, v172, v51
	v_fma_f16 v167, 0xbaee, v52, v158
	v_fmac_f16_e64 v158, 0x3aee, v52
	v_fma_f16 v52, 0x3aee, v180, v46
	v_fmac_f16_e64 v46, 0xbaee, v180
	ds_store_b32 v62, v53 offset:576
	ds_store_b32 v62, v48 offset:1152
	ds_store_2addr_b32 v62, v58, v47 offset1:27
	v_pack_b32_f16 v48, v56, v165
	v_add_f16_e32 v56, v45, v42
	v_add_f16_e64 v60, v160, v164
	v_add_f16_e64 v55, v169, v55
	;; [unrolled: 1-line block ×5, first 2 shown]
	v_pack_b32_f16 v47, v49, v152
	v_pack_b32_f16 v49, v50, v155
	;; [unrolled: 1-line block ×4, first 2 shown]
	v_add_f16_e32 v46, v44, v45
	v_sub_f16_e64 v57, v160, v164
	v_add_f16_e64 v58, v148, v160
	v_sub_f16_e64 v147, v45, v42
	v_fmac_f16_e32 v44, -0.5, v56
	v_fmac_f16_e64 v148, -0.5, v60
	v_fmac_f16_e64 v51, 0xbaee, v172
	v_pack_b32_f16 v54, v54, v151
	v_pack_b32_f16 v55, v55, v156
	;; [unrolled: 1-line block ×4, first 2 shown]
	v_add_f16_e32 v45, v46, v42
	v_add_f16_e64 v42, v58, v164
	v_fmamk_f16 v46, v57, 0x3aee, v44
	v_fmac_f16_e32 v44, 0xbaee, v57
	v_fma_f16 v150, 0xbaee, v147, v148
	v_fmac_f16_e64 v148, 0x3aee, v147
	v_pack_b32_f16 v51, v51, v158
	v_pack_b32_f16 v52, v52, v168
	ds_store_2addr_b32 v62, v43, v48 offset0:171 offset1:198
	ds_store_2addr_b32 v149, v47, v49 offset0:59 offset1:86
	;; [unrolled: 1-line block ×3, first 2 shown]
	ds_store_b32 v62, v51 offset:1476
	ds_store_b32 v62, v50 offset:900
	;; [unrolled: 1-line block ×3, first 2 shown]
	ds_store_2addr_b32 v163, v52, v53 offset0:60 offset1:204
	s_and_saveexec_b32 s0, vcc_lo
	s_cbranch_execz .LBB0_15
; %bb.14:
	v_perm_b32 v43, v42, v45, 0x5040100
	v_perm_b32 v47, v150, v46, 0x5040100
	v_add_nc_u32_e32 v48, 0x200, v62
	v_perm_b32 v49, v148, v44, 0x5040100
	ds_store_2addr_b32 v48, v43, v47 offset0:7 offset1:151
	ds_store_b32 v62, v49 offset:1692
.LBB0_15:
	s_wait_alu 0xfffe
	s_or_b32 exec_lo, exec_lo, s0
	global_wb scope:SCOPE_SE
	s_wait_dscnt 0x0
	s_barrier_signal -1
	s_barrier_wait -1
	global_inv scope:SCOPE_SE
	global_load_b32 v60, v[15:16], off offset:1728
	v_lshlrev_b32_e32 v43, 2, v87
	s_add_nc_u64 s[0:1], s[16:17], 0x6c0
	s_clause 0xd
	global_load_b32 v147, v43, s[0:1] offset:576
	global_load_b32 v149, v43, s[0:1] offset:1152
	global_load_b32 v153, v43, s[0:1] offset:108
	global_load_b32 v154, v43, s[0:1] offset:684
	global_load_b32 v155, v43, s[0:1] offset:1260
	global_load_b32 v156, v43, s[0:1] offset:216
	global_load_b32 v157, v43, s[0:1] offset:792
	global_load_b32 v158, v43, s[0:1] offset:1368
	global_load_b32 v159, v43, s[0:1] offset:324
	global_load_b32 v160, v43, s[0:1] offset:900
	global_load_b32 v161, v43, s[0:1] offset:1476
	global_load_b32 v162, v43, s[0:1] offset:432
	global_load_b32 v163, v43, s[0:1] offset:1008
	global_load_b32 v164, v43, s[0:1] offset:1584
	ds_load_2addr_b32 v[48:49], v62 offset1:27
	ds_load_2addr_b32 v[50:51], v62 offset0:108 offset1:144
	ds_load_2addr_b32 v[52:53], v62 offset0:171 offset1:198
	;; [unrolled: 1-line block ×3, first 2 shown]
	v_add_nc_u32_e32 v47, 0x400, v62
	ds_load_2addr_b32 v[56:57], v62 offset0:225 offset1:252
	ds_load_b32 v165, v62 offset:1584
	ds_load_2addr_b32 v[58:59], v47 offset0:32 offset1:59
	ds_load_2addr_b32 v[151:152], v47 offset0:86 offset1:113
	s_wait_dscnt 0x7
	v_lshrrev_b32_e32 v166, 16, v48
	s_wait_dscnt 0x6
	v_lshrrev_b32_e32 v167, 16, v51
	v_lshrrev_b32_e32 v168, 16, v49
	s_wait_dscnt 0x5
	v_lshrrev_b32_e32 v169, 16, v52
	;; [unrolled: 3-line block ×3, first 2 shown]
	s_wait_dscnt 0x1
	v_lshrrev_b32_e32 v178, 16, v58
	v_lshrrev_b32_e32 v179, 16, v59
	;; [unrolled: 1-line block ×3, first 2 shown]
	s_wait_dscnt 0x0
	v_lshrrev_b32_e32 v180, 16, v151
	v_lshrrev_b32_e32 v181, 16, v152
	;; [unrolled: 1-line block ×6, first 2 shown]
	s_wait_loadcnt 0xd
	v_lshrrev_b32_e32 v183, 16, v147
	s_wait_loadcnt 0xc
	v_lshrrev_b32_e32 v184, 16, v149
	;; [unrolled: 2-line block ×7, first 2 shown]
	v_lshrrev_b32_e32 v177, 16, v60
	s_wait_loadcnt 0x5
	v_lshrrev_b32_e32 v191, 16, v159
	v_lshrrev_b32_e32 v190, 16, v158
	s_wait_loadcnt 0x3
	v_lshrrev_b32_e32 v193, 16, v161
	v_lshrrev_b32_e32 v192, 16, v160
	v_mul_f16_e64 v182, v166, v177
	v_mul_f16_e64 v177, v48, v177
	s_wait_loadcnt 0x2
	v_lshrrev_b32_e32 v194, 16, v162
	s_wait_loadcnt 0x1
	v_lshrrev_b32_e32 v195, 16, v163
	;; [unrolled: 2-line block ×3, first 2 shown]
	v_fma_f16 v48, v48, v60, -v182
	v_fmac_f16_e64 v177, v166, v60
	v_mul_f16_e64 v60, v167, v183
	v_mul_f16_e64 v166, v51, v183
	;; [unrolled: 1-line block ×28, first 2 shown]
	v_fma_f16 v49, v49, v153, -v184
	v_fmac_f16_e64 v185, v168, v153
	v_fma_f16 v58, v58, v149, -v182
	v_fmac_f16_e64 v183, v178, v149
	;; [unrolled: 2-line block ×10, first 2 shown]
	v_pack_b32_f16 v48, v48, v177
	v_fma_f16 v56, v56, v160, -v203
	v_fmac_f16_e64 v192, v173, v160
	v_fma_f16 v50, v50, v162, -v205
	v_fmac_f16_e64 v194, v174, v162
	;; [unrolled: 2-line block ×4, first 2 shown]
	v_pack_b32_f16 v49, v49, v185
	v_pack_b32_f16 v58, v58, v183
	;; [unrolled: 1-line block ×14, first 2 shown]
	ds_store_2addr_b32 v62, v48, v49 offset1:27
	ds_store_2addr_b32 v47, v58, v59 offset0:32 offset1:59
	ds_store_2addr_b32 v62, v52, v53 offset0:171 offset1:198
	;; [unrolled: 1-line block ×6, first 2 shown]
	ds_store_b32 v62, v149 offset:1584
	s_and_saveexec_b32 s2, vcc_lo
	s_cbranch_execz .LBB0_17
; %bb.16:
	s_wait_alu 0xfffe
	v_add_co_u32 v48, s0, s0, v43
	s_wait_alu 0xf1ff
	v_add_co_ci_u32_e64 v49, null, s1, 0, s0
	v_add_nc_u32_e32 v52, 0x200, v62
	s_clause 0x2
	global_load_b32 v43, v[48:49], off offset:540
	global_load_b32 v50, v[48:49], off offset:1116
	global_load_b32 v51, v[48:49], off offset:1692
	ds_load_2addr_b32 v[48:49], v52 offset0:7 offset1:151
	ds_load_b32 v53, v62 offset:1692
	s_wait_dscnt 0x1
	v_lshrrev_b32_e32 v54, 16, v48
	v_lshrrev_b32_e32 v56, 16, v49
	s_wait_dscnt 0x0
	v_lshrrev_b32_e32 v58, 16, v53
	s_wait_loadcnt 0x2
	v_lshrrev_b32_e32 v55, 16, v43
	s_wait_loadcnt 0x1
	;; [unrolled: 2-line block ×3, first 2 shown]
	v_lshrrev_b32_e32 v59, 16, v51
	v_mul_f16_e32 v60, v54, v55
	v_mul_f16_e32 v55, v48, v55
	v_mul_f16_e64 v147, v56, v57
	v_mul_f16_e32 v57, v49, v57
	v_mul_f16_e64 v149, v58, v59
	v_mul_f16_e32 v59, v53, v59
	v_fma_f16 v48, v48, v43, -v60
	v_fmac_f16_e32 v55, v54, v43
	v_fma_f16 v43, v49, v50, -v147
	v_fmac_f16_e32 v57, v56, v50
	v_fma_f16 v49, v53, v51, -v149
	v_fmac_f16_e32 v59, v58, v51
	v_pack_b32_f16 v48, v48, v55
	s_delay_alu instid0(VALU_DEP_4) | instskip(NEXT) | instid1(VALU_DEP_3)
	v_pack_b32_f16 v43, v43, v57
	v_pack_b32_f16 v49, v49, v59
	ds_store_2addr_b32 v52, v48, v43 offset0:7 offset1:151
	ds_store_b32 v62, v49 offset:1692
.LBB0_17:
	s_wait_alu 0xfffe
	s_or_b32 exec_lo, exec_lo, s2
	global_wb scope:SCOPE_SE
	s_wait_dscnt 0x0
	s_barrier_signal -1
	s_barrier_wait -1
	global_inv scope:SCOPE_SE
	ds_load_2addr_b32 v[59:60], v62 offset1:27
	ds_load_2addr_b32 v[49:50], v62 offset0:108 offset1:144
	ds_load_2addr_b32 v[55:56], v47 offset0:32 offset1:59
	;; [unrolled: 1-line block ×6, first 2 shown]
	ds_load_b32 v151, v62 offset:1584
	s_and_saveexec_b32 s0, vcc_lo
	s_cbranch_execz .LBB0_19
; %bb.18:
	v_add_nc_u32_e32 v42, 0x200, v62
	ds_load_2addr_b32 v[45:46], v42 offset0:7 offset1:151
	ds_load_b32 v44, v62 offset:1692
	s_wait_dscnt 0x1
	v_lshrrev_b32_e32 v42, 16, v45
	v_lshrrev_b32_e32 v150, 16, v46
	s_wait_dscnt 0x0
	v_lshrrev_b32_e32 v148, 16, v44
.LBB0_19:
	s_wait_alu 0xfffe
	s_or_b32 exec_lo, exec_lo, s0
	s_delay_alu instid0(VALU_DEP_1)
	v_add_f16_e64 v149, v150, v148
	v_add_f16_e32 v43, v46, v44
	v_sub_f16_e64 v158, v46, v44
	v_sub_f16_e64 v155, v150, v148
	s_wait_dscnt 0x5
	v_pk_add_f16 v159, v50, v55
	v_fma_f16 v149, -0.5, v149, v42
	v_fma_f16 v147, -0.5, v43, v45
	v_pk_add_f16 v160, v50, v55 neg_lo:[0,1] neg_hi:[0,1]
	v_pk_add_f16 v152, v59, v50
	s_wait_dscnt 0x4
	v_pk_add_f16 v153, v60, v57
	v_fma_f16 v50, 0x3aee, v158, v149
	v_fmac_f16_e64 v149, 0xbaee, v158
	v_pk_add_f16 v158, v57, v56
	v_pk_add_f16 v57, v57, v56 neg_lo:[0,1] neg_hi:[0,1]
	v_fma_f16 v43, 0xbaee, v155, v147
	v_fmac_f16_e64 v147, 0x3aee, v155
	v_pk_fma_f16 v59, v159, 0.5, v59 op_sel_hi:[1,0,1] neg_lo:[1,0,0] neg_hi:[1,0,0]
	v_pk_mul_f16 v155, 0x3aee, v160 op_sel_hi:[0,1]
	v_pk_fma_f16 v60, v158, 0.5, v60 op_sel_hi:[1,0,1] neg_lo:[1,0,0] neg_hi:[1,0,0]
	v_pk_mul_f16 v57, 0x3aee, v57 op_sel_hi:[0,1]
	v_pk_add_f16 v55, v152, v55
	v_pk_add_f16 v56, v153, v56
	v_pk_add_f16 v159, v59, v155 op_sel:[0,1] op_sel_hi:[1,0] neg_lo:[0,1] neg_hi:[0,1]
	v_pk_add_f16 v59, v59, v155 op_sel:[0,1] op_sel_hi:[1,0]
	v_pk_add_f16 v155, v60, v57 op_sel:[0,1] op_sel_hi:[1,0] neg_lo:[0,1] neg_hi:[0,1]
	v_pk_add_f16 v57, v60, v57 op_sel:[0,1] op_sel_hi:[1,0]
	s_wait_dscnt 0x3
	v_pk_add_f16 v154, v51, v58
	s_wait_dscnt 0x2
	v_pk_add_f16 v60, v58, v47
	v_bfi_b32 v152, 0xffff, v159, v59
	v_bfi_b32 v59, 0xffff, v59, v159
	;; [unrolled: 1-line block ×3, first 2 shown]
	v_pk_add_f16 v58, v58, v47 neg_lo:[0,1] neg_hi:[0,1]
	v_bfi_b32 v57, 0xffff, v57, v155
	s_wait_dscnt 0x1
	v_pk_add_f16 v156, v52, v53
	global_wb scope:SCOPE_SE
	s_wait_dscnt 0x0
	s_barrier_signal -1
	s_barrier_wait -1
	global_inv scope:SCOPE_SE
	ds_store_2addr_b32 v98, v55, v152 offset1:1
	ds_store_b32 v98, v59 offset:8
	ds_store_2addr_b32 v99, v56, v153 offset1:1
	ds_store_b32 v99, v57 offset:8
	v_pk_add_f16 v56, v53, v48
	v_pk_add_f16 v53, v53, v48 neg_lo:[0,1] neg_hi:[0,1]
	v_pk_add_f16 v157, v49, v54
	v_pk_add_f16 v57, v54, v151
	v_pk_add_f16 v54, v54, v151 neg_lo:[0,1] neg_hi:[0,1]
	v_pk_fma_f16 v51, v60, 0.5, v51 op_sel_hi:[1,0,1] neg_lo:[1,0,0] neg_hi:[1,0,0]
	v_pk_mul_f16 v58, 0x3aee, v58 op_sel_hi:[0,1]
	v_pk_fma_f16 v52, v56, 0.5, v52 op_sel_hi:[1,0,1] neg_lo:[1,0,0] neg_hi:[1,0,0]
	v_pk_mul_f16 v53, 0x3aee, v53 op_sel_hi:[0,1]
	;; [unrolled: 2-line block ×3, first 2 shown]
	v_pk_add_f16 v55, v51, v58 op_sel:[0,1] op_sel_hi:[1,0] neg_lo:[0,1] neg_hi:[0,1]
	v_pk_add_f16 v51, v51, v58 op_sel:[0,1] op_sel_hi:[1,0]
	v_pk_add_f16 v57, v52, v53 op_sel:[0,1] op_sel_hi:[1,0] neg_lo:[0,1] neg_hi:[0,1]
	v_pk_add_f16 v52, v52, v53 op_sel:[0,1] op_sel_hi:[1,0]
	;; [unrolled: 2-line block ×3, first 2 shown]
	v_pk_add_f16 v47, v154, v47
	v_bfi_b32 v56, 0xffff, v55, v51
	v_bfi_b32 v51, 0xffff, v51, v55
	v_pk_add_f16 v48, v156, v48
	v_bfi_b32 v54, 0xffff, v57, v52
	v_bfi_b32 v52, 0xffff, v52, v57
	;; [unrolled: 3-line block ×3, first 2 shown]
	ds_store_2addr_b32 v97, v47, v56 offset1:1
	ds_store_b32 v97, v51 offset:8
	ds_store_2addr_b32 v100, v48, v54 offset1:1
	ds_store_b32 v100, v52 offset:8
	ds_store_2addr_b32 v102, v55, v57 offset1:1
	ds_store_b32 v102, v49 offset:8
	s_and_saveexec_b32 s0, vcc_lo
	s_cbranch_execz .LBB0_21
; %bb.20:
	v_add_f16_e64 v42, v150, v42
	v_add_f16_e32 v45, v46, v45
	v_perm_b32 v46, v50, v43, 0x5040100
	s_delay_alu instid0(VALU_DEP_3) | instskip(NEXT) | instid1(VALU_DEP_3)
	v_add_f16_e64 v42, v148, v42
	v_add_f16_e32 v44, v44, v45
	v_lshl_add_u32 v45, v101, 2, v95
	s_delay_alu instid0(VALU_DEP_2)
	v_pack_b32_f16 v42, v44, v42
	v_perm_b32 v44, v149, v147, 0x5040100
	ds_store_2addr_b32 v45, v42, v46 offset1:1
	ds_store_b32 v45, v44 offset:8
.LBB0_21:
	s_wait_alu 0xfffe
	s_or_b32 exec_lo, exec_lo, s0
	global_wb scope:SCOPE_SE
	s_wait_dscnt 0x0
	s_barrier_signal -1
	s_barrier_wait -1
	global_inv scope:SCOPE_SE
	ds_load_2addr_b32 v[44:45], v62 offset1:27
	ds_load_2addr_b32 v[46:47], v62 offset0:54 offset1:81
	ds_load_2addr_b32 v[48:49], v62 offset0:108 offset1:135
	v_add_nc_u32_e32 v97, 0x400, v62
	ds_load_2addr_b32 v[51:52], v62 offset0:162 offset1:189
	ds_load_2addr_b32 v[53:54], v62 offset0:216 offset1:243
	;; [unrolled: 1-line block ×5, first 2 shown]
	global_wb scope:SCOPE_SE
	s_wait_dscnt 0x0
	s_barrier_signal -1
	s_barrier_wait -1
	global_inv scope:SCOPE_SE
	v_lshrrev_b32_e32 v98, 16, v45
	v_lshrrev_b32_e32 v99, 16, v46
	v_lshrrev_b32_e32 v100, 16, v47
	v_lshrrev_b32_e32 v101, 16, v48
	v_lshrrev_b32_e32 v102, 16, v49
	v_mul_f16_e64 v157, v123, v98
	v_mul_f16_e32 v123, v123, v45
	v_mul_f16_e64 v160, v122, v99
	v_lshrrev_b32_e32 v148, 16, v51
	v_lshrrev_b32_e32 v150, 16, v52
	v_fmac_f16_e64 v157, v8, v45
	v_mul_f16_e32 v45, v122, v46
	v_mul_f16_e32 v122, v121, v100
	v_fmac_f16_e64 v160, v9, v46
	v_mul_f16_e32 v46, v121, v47
	v_lshrrev_b32_e32 v151, 16, v53
	v_fma_f16 v9, v9, v99, -v45
	v_fmac_f16_e32 v122, v10, v47
	v_mul_f16_e32 v45, v120, v101
	v_mul_f16_e32 v47, v120, v48
	v_fma_f16 v8, v8, v98, -v123
	v_fma_f16 v10, v10, v100, -v46
	v_mul_f16_e32 v46, v119, v102
	v_mul_f16_e32 v98, v119, v49
	v_fmac_f16_e32 v45, v11, v48
	v_fma_f16 v11, v11, v101, -v47
	v_mul_f16_e64 v47, v118, v148
	v_mul_f16_e32 v48, v118, v51
	v_lshrrev_b32_e32 v152, 16, v54
	v_lshrrev_b32_e32 v153, 16, v55
	v_fmac_f16_e32 v46, v4, v49
	v_fma_f16 v4, v4, v102, -v98
	v_mul_f16_e64 v49, v117, v150
	v_fmac_f16_e32 v47, v5, v51
	v_mul_f16_e32 v51, v117, v52
	v_mul_f16_e64 v98, v116, v151
	v_fma_f16 v5, v5, v148, -v48
	v_mul_f16_e32 v48, v116, v53
	v_lshrrev_b32_e32 v155, 16, v57
	v_fmac_f16_e32 v49, v6, v52
	v_fma_f16 v6, v6, v150, -v51
	v_fmac_f16_e32 v98, v7, v53
	v_mul_f16_e64 v51, v115, v152
	v_fma_f16 v7, v7, v151, -v48
	v_mul_f16_e64 v48, v114, v153
	v_lshrrev_b32_e32 v154, 16, v56
	v_lshrrev_b32_e32 v158, 16, v59
	v_mul_f16_e32 v52, v115, v54
	v_mul_f16_e32 v53, v114, v55
	v_fmac_f16_e32 v51, v0, v54
	v_fmac_f16_e32 v48, v1, v55
	v_mul_f16_e64 v54, v112, v155
	v_mul_f16_e32 v55, v112, v57
	v_lshrrev_b32_e32 v156, 16, v58
	v_fma_f16 v0, v0, v152, -v52
	v_mul_f16_e64 v52, v113, v154
	v_fma_f16 v1, v1, v153, -v53
	v_mul_f16_e32 v53, v113, v56
	v_fmac_f16_e32 v54, v3, v57
	v_fma_f16 v3, v3, v155, -v55
	v_mul_f16_e64 v55, v110, v158
	v_mul_f16_e32 v57, v110, v59
	v_lshrrev_b32_e32 v159, 16, v60
	v_fmac_f16_e32 v52, v2, v56
	v_mul_f16_e64 v56, v111, v156
	v_fma_f16 v2, v2, v154, -v53
	v_mul_f16_e32 v53, v111, v58
	v_fmac_f16_e32 v55, v13, v59
	v_fma_f16 v13, v13, v158, -v57
	v_fmac_f16_e32 v56, v12, v58
	v_mul_f16_e32 v58, v108, v60
	v_fma_f16 v12, v12, v156, -v53
	v_mul_f16_e64 v53, v108, v159
	v_sub_f16_e32 v57, v44, v98
	v_sub_f16_e32 v54, v45, v54
	;; [unrolled: 1-line block ×3, first 2 shown]
	v_sub_f16_e64 v48, v160, v48
	v_sub_f16_e32 v55, v47, v55
	v_sub_f16_e32 v13, v5, v13
	v_lshrrev_b32_e32 v42, 16, v44
	v_fmac_f16_e32 v53, v14, v60
	v_fma_f16 v14, v14, v159, -v58
	v_fma_f16 v44, v44, 2.0, -v57
	v_fma_f16 v45, v45, 2.0, -v54
	v_sub_f16_e32 v1, v9, v1
	v_fma_f16 v11, v11, 2.0, -v3
	v_fma_f16 v58, v160, 2.0, -v48
	;; [unrolled: 1-line block ×4, first 2 shown]
	v_add_f16_e32 v3, v57, v3
	v_add_f16_e32 v13, v48, v13
	v_sub_f16_e32 v7, v42, v7
	v_sub_f16_e32 v45, v44, v45
	;; [unrolled: 1-line block ×3, first 2 shown]
	v_fma_f16 v57, v57, 2.0, -v3
	v_sub_f16_e32 v55, v1, v55
	v_fma_f16 v48, v48, 2.0, -v13
	v_fma_f16 v9, v9, 2.0, -v1
	v_sub_f16_e64 v51, v157, v51
	v_sub_f16_e32 v56, v46, v56
	v_sub_f16_e32 v12, v4, v12
	;; [unrolled: 1-line block ×7, first 2 shown]
	v_fma_f16 v44, v44, 2.0, -v45
	v_fma_f16 v58, v58, 2.0, -v47
	;; [unrolled: 1-line block ×3, first 2 shown]
	v_fmamk_f16 v98, v48, 0xb9a8, v57
	v_fma_f16 v42, v42, 2.0, -v7
	v_sub_f16_e32 v0, v8, v0
	v_fma_f16 v59, v157, 2.0, -v51
	v_fma_f16 v46, v46, 2.0, -v56
	;; [unrolled: 1-line block ×7, first 2 shown]
	v_add_f16_e32 v12, v51, v12
	v_add_f16_e32 v14, v52, v14
	v_sub_f16_e32 v53, v2, v53
	v_sub_f16_e32 v58, v44, v58
	v_fmac_f16_e32 v98, 0x39a8, v1
	v_fma_f16 v10, v10, 2.0, -v2
	v_sub_f16_e32 v46, v59, v46
	v_sub_f16_e32 v56, v0, v56
	;; [unrolled: 1-line block ×3, first 2 shown]
	v_fma_f16 v51, v51, 2.0, -v12
	v_fma_f16 v52, v52, 2.0, -v14
	v_fmamk_f16 v99, v1, 0xb9a8, v7
	v_fma_f16 v1, v2, 2.0, -v53
	v_fma_f16 v2, v44, 2.0, -v58
	;; [unrolled: 1-line block ×3, first 2 shown]
	v_fmamk_f16 v57, v55, 0x39a8, v54
	v_fma_f16 v8, v8, 2.0, -v0
	v_fma_f16 v59, v59, 2.0, -v46
	;; [unrolled: 1-line block ×4, first 2 shown]
	v_fmac_f16_e32 v99, 0xb9a8, v48
	v_fmamk_f16 v48, v13, 0x39a8, v3
	v_fmac_f16_e32 v57, 0xb9a8, v13
	v_fmamk_f16 v13, v52, 0xb9a8, v51
	v_sub_f16_e32 v5, v9, v5
	v_sub_f16_e32 v6, v10, v6
	v_fmac_f16_e32 v48, 0x39a8, v55
	v_sub_f16_e32 v55, v59, v60
	v_fmamk_f16 v60, v1, 0xb9a8, v0
	v_fmac_f16_e32 v13, 0x39a8, v1
	v_sub_f16_e32 v11, v42, v11
	v_fma_f16 v9, v9, 2.0, -v5
	v_sub_f16_e32 v4, v8, v4
	v_fma_f16 v10, v10, 2.0, -v6
	v_add_f16_e32 v5, v45, v5
	v_fma_f16 v1, v54, 2.0, -v57
	v_fma_f16 v54, v59, 2.0, -v55
	v_fmac_f16_e32 v60, 0xb9a8, v52
	v_fma_f16 v51, v51, 2.0, -v13
	v_fmamk_f16 v52, v14, 0x39a8, v12
	v_add_f16_e32 v6, v46, v6
	v_fmamk_f16 v59, v53, 0x39a8, v56
	v_fma_f16 v42, v42, 2.0, -v11
	v_fma_f16 v8, v8, 2.0, -v4
	v_sub_f16_e32 v47, v11, v47
	v_fma_f16 v7, v7, 2.0, -v99
	v_fma_f16 v45, v45, 2.0, -v5
	v_sub_f16_e32 v49, v4, v49
	v_fma_f16 v0, v0, 2.0, -v60
	v_fmac_f16_e32 v52, 0x39a8, v53
	v_fma_f16 v46, v46, 2.0, -v6
	v_fmac_f16_e32 v59, 0xb9a8, v14
	v_sub_f16_e32 v53, v2, v54
	v_fmamk_f16 v54, v51, 0xbb64, v44
	v_sub_f16_e32 v9, v42, v9
	v_fma_f16 v11, v11, 2.0, -v47
	v_sub_f16_e32 v10, v8, v10
	v_fma_f16 v4, v4, 2.0, -v49
	v_fma_f16 v14, v56, 2.0, -v59
	v_fmamk_f16 v56, v0, 0xbb64, v7
	v_fmac_f16_e32 v54, 0x361f, v0
	v_fmamk_f16 v0, v46, 0xb9a8, v45
	v_fma_f16 v42, v42, 2.0, -v9
	v_fma_f16 v3, v3, 2.0, -v48
	;; [unrolled: 1-line block ×4, first 2 shown]
	v_fmamk_f16 v101, v4, 0xb9a8, v11
	v_fmac_f16_e32 v0, 0x39a8, v4
	v_fmamk_f16 v4, v14, 0xb61f, v1
	v_sub_f16_e32 v8, v42, v8
	v_fmac_f16_e32 v56, 0xb61f, v51
	v_fmamk_f16 v51, v12, 0xb61f, v3
	v_fmac_f16_e32 v101, 0xb9a8, v46
	v_fmac_f16_e32 v4, 0xbb64, v12
	v_sub_f16_e32 v12, v9, v55
	v_fmamk_f16 v46, v13, 0x361f, v98
	v_fmamk_f16 v55, v60, 0x361f, v99
	v_fma_f16 v100, v42, 2.0, -v8
	v_fmac_f16_e32 v51, 0x3b64, v14
	v_fmamk_f16 v42, v52, 0x3b64, v48
	v_fmac_f16_e32 v46, 0x3b64, v60
	v_fmac_f16_e32 v55, 0xbb64, v13
	v_fmamk_f16 v13, v6, 0x39a8, v5
	v_fmamk_f16 v60, v49, 0x39a8, v47
	;; [unrolled: 1-line block ×3, first 2 shown]
	v_add_f16_e32 v10, v58, v10
	v_fma_f16 v2, v2, 2.0, -v53
	v_fma_f16 v44, v44, 2.0, -v54
	;; [unrolled: 1-line block ×3, first 2 shown]
	v_fmac_f16_e32 v13, 0x39a8, v49
	v_fmac_f16_e32 v60, 0xb9a8, v6
	;; [unrolled: 1-line block ×4, first 2 shown]
	v_fma_f16 v45, v45, 2.0, -v0
	v_fma_f16 v11, v11, 2.0, -v101
	;; [unrolled: 1-line block ×12, first 2 shown]
	v_pack_b32_f16 v2, v2, v100
	v_pack_b32_f16 v7, v44, v7
	;; [unrolled: 1-line block ×6, first 2 shown]
	ds_store_2addr_b32 v96, v2, v7 offset1:3
	ds_store_2addr_b32 v96, v11, v1 offset0:6 offset1:9
	ds_store_2addr_b32 v96, v3, v6 offset0:12 offset1:15
	v_pack_b32_f16 v1, v5, v47
	v_pack_b32_f16 v2, v48, v49
	;; [unrolled: 1-line block ×10, first 2 shown]
	ds_store_2addr_b32 v96, v1, v2 offset0:18 offset1:21
	ds_store_2addr_b32 v96, v3, v5 offset0:24 offset1:27
	;; [unrolled: 1-line block ×5, first 2 shown]
	global_wb scope:SCOPE_SE
	s_wait_dscnt 0x0
	s_barrier_signal -1
	s_barrier_wait -1
	global_inv scope:SCOPE_SE
	ds_load_2addr_b32 v[6:7], v62 offset1:27
	ds_load_2addr_b32 v[2:3], v62 offset0:108 offset1:144
	ds_load_2addr_b32 v[12:13], v97 offset0:32 offset1:59
	;; [unrolled: 1-line block ×6, first 2 shown]
	ds_load_b32 v44, v62 offset:1584
	s_and_saveexec_b32 s0, vcc_lo
	s_cbranch_execz .LBB0_23
; %bb.22:
	v_add_nc_u32_e32 v14, 0x200, v62
	ds_load_2addr_b32 v[42:43], v14 offset0:7 offset1:151
	ds_load_b32 v147, v62 offset:1692
	s_wait_dscnt 0x1
	v_lshrrev_b32_e32 v14, 16, v42
	v_lshrrev_b32_e32 v50, 16, v43
	s_wait_dscnt 0x0
	v_lshrrev_b32_e32 v149, 16, v147
.LBB0_23:
	s_wait_alu 0xfffe
	s_or_b32 exec_lo, exec_lo, s0
	s_wait_dscnt 0x6
	v_lshrrev_b32_e32 v46, 16, v3
	s_wait_dscnt 0x5
	v_lshrrev_b32_e32 v47, 16, v12
	;; [unrolled: 2-line block ×3, first 2 shown]
	v_mul_f16_e64 v96, v133, v3
	v_lshrrev_b32_e32 v51, 16, v13
	v_mul_f16_e64 v59, v133, v46
	v_mul_f16_e64 v98, v130, v47
	v_lshrrev_b32_e32 v53, 16, v11
	s_wait_dscnt 0x2
	v_lshrrev_b32_e32 v54, 16, v8
	s_wait_dscnt 0x1
	v_lshrrev_b32_e32 v56, 16, v0
	v_fmac_f16_e32 v59, v18, v3
	v_mul_f16_e64 v3, v130, v12
	v_fma_f16 v18, v18, v46, -v96
	v_mul_f16_e64 v46, v136, v49
	v_fmac_f16_e32 v98, v19, v12
	v_mul_f16_e64 v12, v136, v10
	v_fma_f16 v3, v19, v47, -v3
	v_mul_f16_e64 v19, v134, v51
	;; [unrolled: 4-line block ×3, first 2 shown]
	v_lshrrev_b32_e32 v57, 16, v9
	v_fmac_f16_e32 v19, v31, v13
	v_mul_f16_e64 v13, v131, v11
	v_fma_f16 v10, v31, v51, -v10
	v_mul_f16_e64 v31, v128, v54
	v_fmac_f16_e32 v30, v26, v11
	v_mul_f16_e64 v11, v128, v8
	v_lshrrev_b32_e32 v60, 16, v1
	v_fma_f16 v13, v26, v53, -v13
	v_mul_f16_e64 v26, v137, v56
	v_fmac_f16_e32 v31, v27, v8
	v_mul_f16_e64 v8, v137, v0
	v_fma_f16 v11, v27, v54, -v11
	v_mul_f16_e64 v27, v135, v57
	s_wait_dscnt 0x0
	v_lshrrev_b32_e32 v97, 16, v44
	v_fmac_f16_e32 v26, v28, v0
	v_mul_f16_e64 v0, v135, v9
	v_fma_f16 v8, v28, v56, -v8
	v_mul_f16_e64 v28, v132, v60
	v_fmac_f16_e32 v27, v29, v9
	v_mul_f16_e64 v9, v132, v1
	v_fma_f16 v0, v29, v57, -v0
	v_mul_f16_e64 v29, v129, v97
	v_fmac_f16_e32 v28, v24, v1
	v_mul_f16_e64 v1, v129, v44
	v_fma_f16 v9, v24, v60, -v9
	v_mul_f16_e32 v24, v127, v50
	v_fmac_f16_e32 v29, v25, v44
	v_mul_f16_e32 v44, v127, v43
	v_fma_f16 v1, v25, v97, -v1
	v_mul_f16_e64 v25, v125, v149
	v_fmac_f16_e32 v24, v22, v43
	v_mul_f16_e64 v43, v125, v147
	v_lshrrev_b32_e32 v45, 16, v6
	v_fma_f16 v22, v22, v50, -v44
	v_add_f16_e32 v44, v59, v98
	v_fmac_f16_e64 v25, v23, v147
	v_fma_f16 v23, v23, v149, -v43
	v_add_f16_e32 v43, v18, v3
	v_add_f16_e32 v47, v6, v59
	v_fma_f16 v6, -0.5, v44, v6
	v_sub_f16_e32 v44, v18, v3
	v_add_f16_e32 v18, v45, v18
	v_fmac_f16_e32 v45, -0.5, v43
	v_sub_f16_e32 v43, v59, v98
	v_lshrrev_b32_e32 v48, 16, v7
	v_fmamk_f16 v49, v44, 0xbaee, v6
	v_fmac_f16_e32 v6, 0x3aee, v44
	v_add_f16_e32 v3, v18, v3
	v_add_f16_e32 v18, v46, v19
	v_fmamk_f16 v44, v43, 0x3aee, v45
	v_add_f16_e32 v50, v7, v46
	v_fmac_f16_e32 v45, 0xbaee, v43
	v_add_f16_e32 v43, v12, v10
	v_fmac_f16_e32 v7, -0.5, v18
	v_sub_f16_e32 v18, v12, v10
	v_add_f16_e32 v50, v50, v19
	v_add_f16_e32 v12, v48, v12
	v_fmac_f16_e32 v48, -0.5, v43
	v_sub_f16_e32 v19, v46, v19
	v_lshrrev_b32_e32 v52, 16, v4
	v_fmamk_f16 v43, v18, 0xbaee, v7
	v_fmac_f16_e32 v7, 0x3aee, v18
	v_add_f16_e32 v10, v12, v10
	v_add_f16_e32 v12, v30, v31
	v_fmamk_f16 v18, v19, 0x3aee, v48
	v_fmac_f16_e32 v48, 0xbaee, v19
	v_add_f16_e32 v19, v13, v11
	v_add_f16_e32 v46, v4, v30
	v_fma_f16 v4, -0.5, v12, v4
	v_sub_f16_e32 v12, v13, v11
	v_add_f16_e32 v13, v52, v13
	v_fmac_f16_e32 v52, -0.5, v19
	v_sub_f16_e32 v19, v30, v31
	v_lshrrev_b32_e32 v55, 16, v5
	v_fmamk_f16 v30, v12, 0xbaee, v4
	v_fmac_f16_e32 v4, 0x3aee, v12
	v_add_f16_e32 v11, v13, v11
	v_add_f16_e32 v12, v26, v27
	v_fmamk_f16 v13, v19, 0x3aee, v52
	v_fmac_f16_e32 v52, 0xbaee, v19
	v_add_f16_e32 v19, v8, v0
	v_add_f16_e32 v46, v46, v31
	;; [unrolled: 1-line block ×3, first 2 shown]
	v_fmac_f16_e32 v5, -0.5, v12
	v_sub_f16_e32 v12, v8, v0
	v_add_f16_e32 v8, v55, v8
	v_fmac_f16_e32 v55, -0.5, v19
	v_sub_f16_e32 v19, v26, v27
	v_lshrrev_b32_e32 v58, 16, v2
	v_fmamk_f16 v26, v12, 0xbaee, v5
	v_fmac_f16_e32 v5, 0x3aee, v12
	v_add_f16_e32 v8, v8, v0
	v_add_f16_e32 v0, v28, v29
	v_fmamk_f16 v12, v19, 0x3aee, v55
	v_fmac_f16_e32 v55, 0xbaee, v19
	v_add_f16_e32 v19, v9, v1
	v_add_f16_e32 v31, v31, v27
	;; [unrolled: 1-line block ×3, first 2 shown]
	v_fmac_f16_e32 v2, -0.5, v0
	v_sub_f16_e32 v0, v9, v1
	v_add_f16_e32 v9, v58, v9
	v_fmac_f16_e32 v58, -0.5, v19
	v_sub_f16_e32 v19, v28, v29
	v_add_f16_e32 v47, v47, v98
	v_add_f16_e32 v27, v27, v29
	v_fmamk_f16 v28, v0, 0xbaee, v2
	v_fmac_f16_e32 v2, 0x3aee, v0
	v_add_f16_e32 v0, v24, v25
	v_fmamk_f16 v29, v19, 0x3aee, v58
	v_fmac_f16_e32 v58, 0xbaee, v19
	v_add_f16_e32 v19, v24, v42
	v_add_f16_e32 v9, v9, v1
	;; [unrolled: 1-line block ×3, first 2 shown]
	v_fmac_f16_e32 v42, -0.5, v0
	v_pack_b32_f16 v3, v47, v3
	v_add_f16_e32 v0, v19, v25
	v_pack_b32_f16 v19, v49, v44
	v_sub_f16_e32 v51, v22, v23
	v_add_f16_e32 v22, v22, v14
	v_fmac_f16_e32 v14, -0.5, v1
	v_sub_f16_e32 v24, v24, v25
	global_wb scope:SCOPE_SE
	s_barrier_signal -1
	s_barrier_wait -1
	global_inv scope:SCOPE_SE
	ds_store_2addr_b32 v62, v3, v19 offset1:48
	v_pack_b32_f16 v3, v6, v45
	v_pack_b32_f16 v6, v50, v10
	;; [unrolled: 1-line block ×6, first 2 shown]
	v_fmamk_f16 v1, v51, 0xbaee, v42
	v_fmac_f16_e32 v42, 0x3aee, v51
	v_add_f16_e32 v22, v23, v22
	v_fmamk_f16 v23, v24, 0x3aee, v14
	v_fmac_f16_e32 v14, 0xbaee, v24
	ds_store_b32 v62, v3 offset:384
	ds_store_2addr_b32 v107, v6, v10 offset1:48
	ds_store_b32 v107, v7 offset:384
	ds_store_b32 v62, v11 offset:600
	;; [unrolled: 1-line block ×3, first 2 shown]
	v_pack_b32_f16 v3, v4, v52
	v_pack_b32_f16 v4, v31, v8
	;; [unrolled: 1-line block ×6, first 2 shown]
	v_add_nc_u32_e32 v9, 0x400, v105
	v_pack_b32_f16 v2, v2, v58
	ds_store_b32 v62, v3 offset:984
	ds_store_2addr_b32 v109, v4, v6 offset1:48
	ds_store_b32 v109, v5 offset:384
	ds_store_2addr_b32 v9, v7, v8 offset0:32 offset1:80
	ds_store_b32 v105, v2 offset:1536
	s_and_saveexec_b32 s0, vcc_lo
	s_cbranch_execz .LBB0_25
; %bb.24:
	v_lshl_add_u32 v2, v103, 2, v95
	v_perm_b32 v3, v22, v0, 0x5040100
	v_perm_b32 v4, v23, v1, 0x5040100
	;; [unrolled: 1-line block ×3, first 2 shown]
	s_delay_alu instid0(VALU_DEP_4)
	v_add_nc_u32_e32 v5, 0x400, v2
	ds_store_2addr_b32 v5, v3, v4 offset0:32 offset1:80
	ds_store_b32 v2, v6 offset:1536
.LBB0_25:
	s_wait_alu 0xfffe
	s_or_b32 exec_lo, exec_lo, s0
	v_add_nc_u32_e32 v25, 0x400, v62
	global_wb scope:SCOPE_SE
	s_wait_dscnt 0x0
	s_barrier_signal -1
	s_barrier_wait -1
	global_inv scope:SCOPE_SE
	ds_load_2addr_b32 v[6:7], v62 offset1:27
	ds_load_2addr_b32 v[2:3], v62 offset0:108 offset1:144
	ds_load_2addr_b32 v[18:19], v25 offset0:32 offset1:59
	;; [unrolled: 1-line block ×6, first 2 shown]
	ds_load_b32 v26, v62 offset:1584
	v_add_nc_u32_e32 v24, 0x1b0, v138
	s_and_saveexec_b32 s0, vcc_lo
	s_cbranch_execz .LBB0_27
; %bb.26:
	v_add_nc_u32_e32 v0, 0x200, v62
	ds_load_2addr_b32 v[0:1], v0 offset0:7 offset1:151
	ds_load_b32 v42, v62 offset:1692
	s_wait_dscnt 0x1
	v_lshrrev_b32_e32 v22, 16, v0
	v_lshrrev_b32_e32 v23, 16, v1
	s_wait_dscnt 0x0
	v_lshrrev_b32_e32 v14, 16, v42
.LBB0_27:
	s_wait_alu 0xfffe
	s_or_b32 exec_lo, exec_lo, s0
	s_wait_dscnt 0x6
	v_lshrrev_b32_e32 v28, 16, v3
	s_wait_dscnt 0x5
	v_lshrrev_b32_e32 v29, 16, v18
	s_wait_dscnt 0x4
	v_lshrrev_b32_e32 v31, 16, v12
	v_mul_f16_e32 v53, v126, v3
	v_lshrrev_b32_e32 v43, 16, v19
	v_mul_f16_e32 v51, v126, v28
	v_mul_f16_e32 v55, v124, v29
	v_lshrrev_b32_e32 v45, 16, v13
	s_wait_dscnt 0x2
	v_lshrrev_b32_e32 v46, 16, v10
	v_fma_f16 v28, v32, v28, -v53
	v_fmac_f16_e32 v51, v32, v3
	v_mul_f16_e32 v3, v124, v18
	v_fmac_f16_e32 v55, v33, v18
	v_mul_f16_e64 v18, v146, v12
	v_mul_f16_e64 v32, v146, v31
	s_wait_dscnt 0x1
	v_lshrrev_b32_e32 v48, 16, v8
	v_fma_f16 v3, v33, v29, -v3
	v_mul_f16_e64 v29, v145, v43
	v_fma_f16 v18, v38, v31, -v18
	v_mul_f16_e64 v31, v144, v45
	v_mul_f16_e64 v33, v143, v46
	v_lshrrev_b32_e32 v49, 16, v11
	v_fmac_f16_e32 v32, v38, v12
	v_mul_f16_e64 v12, v145, v19
	v_lshrrev_b32_e32 v52, 16, v9
	v_fmac_f16_e32 v29, v39, v19
	v_mul_f16_e64 v19, v144, v13
	v_fmac_f16_e32 v31, v40, v13
	v_mul_f16_e64 v13, v143, v10
	v_mul_f16_e64 v38, v142, v48
	v_fmac_f16_e32 v33, v41, v10
	v_mul_f16_e64 v10, v142, v8
	v_fma_f16 v12, v39, v43, -v12
	v_mul_f16_e64 v39, v141, v49
	s_wait_dscnt 0x0
	v_lshrrev_b32_e32 v54, 16, v26
	v_fmac_f16_e32 v38, v36, v8
	v_mul_f16_e64 v8, v141, v11
	v_fma_f16 v10, v36, v48, -v10
	v_mul_f16_e64 v36, v140, v52
	v_fmac_f16_e32 v39, v37, v11
	v_mul_f16_e64 v11, v140, v9
	v_fma_f16 v8, v37, v49, -v8
	v_mul_f16_e64 v37, v139, v54
	v_fmac_f16_e32 v36, v34, v9
	v_mul_f16_e64 v9, v139, v26
	v_lshrrev_b32_e32 v27, 16, v6
	v_fma_f16 v11, v34, v52, -v11
	v_add_f16_e32 v34, v51, v55
	v_fmac_f16_e32 v37, v35, v26
	v_fma_f16 v9, v35, v54, -v9
	v_add_f16_e32 v35, v28, v3
	v_add_f16_e32 v26, v6, v51
	v_fma_f16 v6, -0.5, v34, v6
	v_sub_f16_e32 v34, v28, v3
	v_add_f16_e32 v28, v27, v28
	v_fmac_f16_e32 v27, -0.5, v35
	v_sub_f16_e32 v35, v51, v55
	v_lshrrev_b32_e32 v30, 16, v7
	v_fma_f16 v19, v40, v45, -v19
	v_add_f16_e32 v3, v28, v3
	v_add_f16_e32 v28, v32, v29
	v_fma_f16 v13, v41, v46, -v13
	v_fmamk_f16 v40, v34, 0xbaee, v6
	v_fmac_f16_e32 v6, 0x3aee, v34
	v_fmamk_f16 v34, v35, 0x3aee, v27
	v_add_f16_e32 v41, v7, v32
	v_fmac_f16_e32 v27, 0xbaee, v35
	v_add_f16_e32 v35, v18, v12
	v_fmac_f16_e32 v7, -0.5, v28
	v_sub_f16_e32 v28, v18, v12
	v_add_f16_e32 v18, v30, v18
	v_add_f16_e32 v41, v41, v29
	v_fmac_f16_e32 v30, -0.5, v35
	v_sub_f16_e32 v29, v32, v29
	v_lshrrev_b32_e32 v44, 16, v4
	v_add_f16_e32 v12, v18, v12
	v_add_f16_e32 v18, v31, v33
	v_fmamk_f16 v32, v28, 0xbaee, v7
	v_fmac_f16_e32 v7, 0x3aee, v28
	v_fmamk_f16 v28, v29, 0x3aee, v30
	v_fmac_f16_e32 v30, 0xbaee, v29
	v_add_f16_e32 v29, v19, v13
	v_add_f16_e32 v35, v4, v31
	v_fma_f16 v4, -0.5, v18, v4
	v_sub_f16_e32 v18, v19, v13
	v_add_f16_e32 v19, v44, v19
	v_fmac_f16_e32 v44, -0.5, v29
	v_sub_f16_e32 v29, v31, v33
	v_lshrrev_b32_e32 v47, 16, v5
	v_fmamk_f16 v31, v18, 0xbaee, v4
	v_fmac_f16_e32 v4, 0x3aee, v18
	v_add_f16_e32 v18, v38, v39
	v_add_f16_e32 v13, v19, v13
	v_fmamk_f16 v19, v29, 0x3aee, v44
	v_fmac_f16_e32 v44, 0xbaee, v29
	v_add_f16_e32 v29, v10, v8
	v_add_f16_e32 v35, v35, v33
	;; [unrolled: 1-line block ×3, first 2 shown]
	v_fmac_f16_e32 v5, -0.5, v18
	v_sub_f16_e32 v18, v10, v8
	v_add_f16_e32 v10, v47, v10
	v_fmac_f16_e32 v47, -0.5, v29
	v_sub_f16_e32 v29, v38, v39
	v_lshrrev_b32_e32 v50, 16, v2
	v_fmamk_f16 v38, v18, 0xbaee, v5
	v_add_f16_e32 v8, v10, v8
	v_add_f16_e32 v10, v36, v37
	v_fmac_f16_e32 v5, 0x3aee, v18
	v_fmamk_f16 v18, v29, 0x3aee, v47
	v_fmac_f16_e32 v47, 0xbaee, v29
	v_add_f16_e32 v29, v11, v9
	v_add_f16_e32 v26, v26, v55
	;; [unrolled: 1-line block ×4, first 2 shown]
	v_fmac_f16_e32 v2, -0.5, v10
	v_sub_f16_e32 v10, v11, v9
	v_add_f16_e32 v11, v50, v11
	v_fmac_f16_e32 v50, -0.5, v29
	v_sub_f16_e32 v29, v36, v37
	v_pack_b32_f16 v3, v26, v3
	v_pack_b32_f16 v12, v41, v12
	;; [unrolled: 1-line block ×6, first 2 shown]
	v_add_f16_e32 v36, v39, v37
	v_add_f16_e32 v9, v11, v9
	v_fmamk_f16 v37, v10, 0xbaee, v2
	v_fmac_f16_e32 v2, 0x3aee, v10
	v_fmamk_f16 v10, v29, 0x3aee, v50
	v_fmac_f16_e32 v50, 0xbaee, v29
	ds_store_2addr_b32 v62, v3, v12 offset1:27
	v_pack_b32_f16 v12, v35, v13
	ds_store_2addr_b32 v62, v26, v19 offset0:171 offset1:198
	ds_store_2addr_b32 v25, v7, v4 offset0:59 offset1:86
	v_pack_b32_f16 v4, v33, v8
	v_add_nc_u32_e32 v3, 0x200, v62
	v_pack_b32_f16 v6, v6, v27
	v_pack_b32_f16 v7, v38, v18
	;; [unrolled: 1-line block ×7, first 2 shown]
	v_add_nc_u32_e32 v10, 0x200, v24
	ds_store_2addr_b32 v62, v12, v4 offset0:54 offset1:81
	ds_store_2addr_b32 v3, v7, v6 offset0:97 offset1:160
	ds_store_b32 v62, v5 offset:1476
	ds_store_2addr_b32 v62, v8, v11 offset0:108 offset1:144
	ds_store_2addr_b32 v10, v9, v2 offset0:16 offset1:160
	s_and_saveexec_b32 s0, vcc_lo
	s_cbranch_execz .LBB0_29
; %bb.28:
	v_mul_f16_e32 v2, v61, v42
	v_mul_f16_e32 v4, v104, v1
	;; [unrolled: 1-line block ×4, first 2 shown]
	s_delay_alu instid0(VALU_DEP_4) | instskip(NEXT) | instid1(VALU_DEP_4)
	v_fma_f16 v2, v21, v14, -v2
	v_fma_f16 v4, v20, v23, -v4
	s_delay_alu instid0(VALU_DEP_4) | instskip(NEXT) | instid1(VALU_DEP_4)
	v_fmac_f16_e32 v5, v20, v1
	v_fmac_f16_e32 v6, v21, v42
	s_delay_alu instid0(VALU_DEP_3) | instskip(SKIP_1) | instid1(VALU_DEP_3)
	v_add_f16_e32 v1, v4, v2
	v_add_f16_e32 v7, v4, v22
	;; [unrolled: 1-line block ×4, first 2 shown]
	v_sub_f16_e32 v5, v5, v6
	v_fmac_f16_e32 v22, -0.5, v1
	v_sub_f16_e32 v1, v4, v2
	v_fmac_f16_e32 v0, -0.5, v8
	v_add_f16_e32 v2, v2, v7
	v_add_f16_e32 v4, v9, v6
	v_fmamk_f16 v6, v5, 0xbaee, v22
	v_fmac_f16_e32 v22, 0x3aee, v5
	v_fmamk_f16 v5, v1, 0x3aee, v0
	v_fmac_f16_e32 v0, 0xbaee, v1
	v_pack_b32_f16 v1, v4, v2
	s_delay_alu instid0(VALU_DEP_3) | instskip(NEXT) | instid1(VALU_DEP_3)
	v_pack_b32_f16 v2, v5, v6
	v_pack_b32_f16 v0, v0, v22
	ds_store_2addr_b32 v3, v1, v0 offset0:7 offset1:151
	ds_store_b32 v62, v2 offset:1692
.LBB0_29:
	s_wait_alu 0xfffe
	s_or_b32 exec_lo, exec_lo, s0
	global_wb scope:SCOPE_SE
	s_wait_dscnt 0x0
	s_barrier_signal -1
	s_barrier_wait -1
	global_inv scope:SCOPE_SE
	ds_load_2addr_b32 v[4:5], v62 offset1:27
	ds_load_2addr_b32 v[0:1], v62 offset0:108 offset1:144
	v_mad_co_u64_u32 v[22:23], null, s8, v87, 0
	v_add_nc_u32_e32 v6, 0x400, v62
	s_mov_b32 s6, 0xbda12f68
	s_mov_b32 s7, 0x3f62f684
	v_mad_co_u64_u32 v[18:19], null, s10, v17, 0
	s_wait_dscnt 0x1
	v_lshrrev_b32_e32 v7, 16, v4
	v_mul_f16_e32 v2, v94, v4
	s_wait_dscnt 0x0
	v_lshrrev_b32_e32 v8, 16, v1
	v_mul_f16_e32 v9, v93, v1
	v_mul_f16_e32 v11, v94, v7
	v_fma_f16 v10, v89, v7, -v2
	ds_load_2addr_b32 v[2:3], v6 offset0:32 offset1:59
	v_fma_f16 v7, v91, v8, -v9
	v_fmac_f16_e32 v11, v89, v4
	v_mul_f16_e32 v4, v93, v8
	v_cvt_f32_f16_e32 v9, v10
	s_delay_alu instid0(VALU_DEP_4) | instskip(NEXT) | instid1(VALU_DEP_4)
	v_cvt_f32_f16_e32 v10, v7
	v_cvt_f32_f16_e32 v11, v11
	s_delay_alu instid0(VALU_DEP_4) | instskip(NEXT) | instid1(VALU_DEP_4)
	v_fmac_f16_e32 v4, v91, v1
	v_cvt_f64_f32_e32 v[7:8], v9
	s_delay_alu instid0(VALU_DEP_4) | instskip(NEXT) | instid1(VALU_DEP_4)
	v_cvt_f64_f32_e32 v[9:10], v10
	v_cvt_f64_f32_e32 v[11:12], v11
	s_delay_alu instid0(VALU_DEP_4) | instskip(NEXT) | instid1(VALU_DEP_1)
	v_cvt_f32_f16_e32 v1, v4
	v_cvt_f64_f32_e32 v[13:14], v1
	s_wait_dscnt 0x0
	v_lshrrev_b32_e32 v4, 16, v2
	s_delay_alu instid0(VALU_DEP_1) | instskip(NEXT) | instid1(VALU_DEP_1)
	v_mul_f16_e32 v1, v92, v4
	v_fmac_f16_e32 v1, v90, v2
	v_mul_f16_e32 v2, v92, v2
	s_delay_alu instid0(VALU_DEP_2) | instskip(NEXT) | instid1(VALU_DEP_2)
	v_cvt_f32_f16_e32 v1, v1
	v_fma_f16 v4, v90, v4, -v2
	s_delay_alu instid0(VALU_DEP_2) | instskip(NEXT) | instid1(VALU_DEP_2)
	v_cvt_f64_f32_e32 v[1:2], v1
	v_cvt_f32_f16_e32 v4, v4
	s_delay_alu instid0(VALU_DEP_1)
	v_cvt_f64_f32_e32 v[20:21], v4
	v_mov_b32_e32 v4, v19
	s_wait_alu 0xfffe
	v_mul_f64_e32 v[7:8], s[6:7], v[7:8]
	v_mul_f64_e32 v[9:10], s[6:7], v[9:10]
	v_mov_b32_e32 v19, v23
	v_mul_f64_e32 v[11:12], s[6:7], v[11:12]
	v_mad_co_u64_u32 v[23:24], null, s11, v17, v[4:5]
	v_lshrrev_b32_e32 v4, 16, v5
	v_mul_f64_e32 v[13:14], s[6:7], v[13:14]
	v_mul_f64_e32 v[1:2], s[6:7], v[1:2]
	v_mad_co_u64_u32 v[24:25], null, s9, v87, v[19:20]
	v_mov_b32_e32 v19, v23
	v_and_or_b32 v7, 0x1ff, v8, v7
	v_and_or_b32 v9, 0x1ff, v10, v9
	;; [unrolled: 1-line block ×3, first 2 shown]
	v_bfe_u32 v27, v10, 20, 11
	v_lshlrev_b64_e32 v[17:18], 2, v[18:19]
	v_bfe_u32 v29, v12, 20, 11
	v_lshrrev_b32_e32 v28, 8, v12
	v_lshrrev_b32_e32 v12, 16, v12
	v_and_or_b32 v13, 0x1ff, v14, v13
	v_bfe_u32 v32, v14, 20, 11
	v_add_co_u32 v25, s0, s4, v17
	s_wait_alu 0xf1ff
	v_add_co_ci_u32_e64 v26, s0, s5, v18, s0
	v_cmp_ne_u32_e64 s0, 0, v7
	v_mov_b32_e32 v23, v24
	v_mul_f16_e32 v24, v88, v4
	v_mul_f64_e32 v[17:18], s[6:7], v[20:21]
	v_lshrrev_b32_e32 v20, 8, v8
	s_wait_alu 0xf1ff
	v_cndmask_b32_e64 v7, 0, 1, s0
	v_cmp_ne_u32_e64 s0, 0, v9
	v_fmac_f16_e32 v24, v85, v5
	v_bfe_u32 v21, v8, 20, 11
	v_sub_nc_u32_e32 v33, 0x3f1, v27
	v_and_or_b32 v7, 0xffe, v20, v7
	s_wait_alu 0xf1ff
	v_cndmask_b32_e64 v9, 0, 1, s0
	v_cmp_ne_u32_e64 s0, 0, v11
	v_cvt_f32_f16_e32 v19, v24
	v_lshrrev_b32_e32 v24, 8, v10
	v_sub_nc_u32_e32 v30, 0x3f1, v21
	v_add_nc_u32_e32 v21, 0xfffffc10, v21
	s_wait_alu 0xf1ff
	v_cndmask_b32_e64 v11, 0, 1, s0
	v_cmp_ne_u32_e64 s0, 0, v13
	v_sub_nc_u32_e32 v34, 0x3f1, v29
	v_and_or_b32 v1, 0x1ff, v2, v1
	v_lshrrev_b32_e32 v31, 8, v14
	v_med3_i32 v20, v30, 0, 13
	s_wait_alu 0xf1ff
	v_cndmask_b32_e64 v13, 0, 1, s0
	v_cmp_ne_u32_e64 s0, 0, v7
	v_and_or_b32 v9, 0xffe, v24, v9
	v_med3_i32 v24, v33, 0, 13
	v_and_or_b32 v11, 0xffe, v28, v11
	v_med3_i32 v28, v34, 0, 13
	v_or_b32_e32 v33, 0x1000, v7
	v_lshl_or_b32 v34, v21, 12, v7
	s_wait_alu 0xf1ff
	v_cndmask_b32_e64 v7, 0, 1, s0
	v_cmp_ne_u32_e64 s0, 0, v1
	v_add_nc_u32_e32 v29, 0xfffffc10, v29
	v_and_or_b32 v13, 0xffe, v31, v13
	v_or_b32_e32 v31, 0x1000, v9
	v_lshrrev_b32_e32 v38, v20, v33
	s_wait_alu 0xf1ff
	v_cndmask_b32_e64 v1, 0, 1, s0
	v_cmp_ne_u32_e64 s0, 0, v11
	v_sub_nc_u32_e32 v30, 0x3f1, v32
	v_add_nc_u32_e32 v32, 0xfffffc10, v32
	v_or_b32_e32 v36, 0x1000, v11
	v_lshl_or_b32 v37, v29, 12, v11
	s_wait_alu 0xf1ff
	v_cndmask_b32_e64 v11, 0, 1, s0
	v_cmp_ne_u32_e64 s0, 0, v13
	v_lshrrev_b32_e32 v41, v24, v31
	v_lshlrev_b32_e32 v20, v20, v38
	v_med3_i32 v30, v30, 0, 13
	v_or_b32_e32 v39, 0x1000, v13
	v_lshl_or_b32 v40, v32, 12, v13
	s_wait_alu 0xf1ff
	v_cndmask_b32_e64 v13, 0, 1, s0
	v_lshrrev_b32_e32 v42, v28, v36
	v_lshlrev_b32_e32 v24, v24, v41
	v_cmp_ne_u32_e64 s0, v20, v33
	v_lshrrev_b32_e32 v43, v30, v39
	v_add_nc_u32_e32 v27, 0xfffffc10, v27
	v_lshlrev_b32_e32 v28, v28, v42
	v_lshl_or_b32 v11, v11, 9, 0x7c00
	s_wait_alu 0xf1ff
	v_cndmask_b32_e64 v20, 0, 1, s0
	v_cmp_ne_u32_e64 s0, v24, v31
	v_lshlrev_b32_e32 v30, v30, v43
	v_lshl_or_b32 v35, v27, 12, v9
	v_lshl_or_b32 v7, v7, 9, 0x7c00
	v_or_b32_e32 v20, v38, v20
	s_wait_alu 0xf1ff
	v_cndmask_b32_e64 v24, 0, 1, s0
	v_cmp_ne_u32_e64 s0, v28, v36
	v_lshrrev_b32_e32 v8, 16, v8
	v_lshl_or_b32 v13, v13, 9, 0x7c00
	v_lshlrev_b64_e32 v[22:23], 2, v[22:23]
	v_or_b32_e32 v24, v41, v24
	s_wait_alu 0xf1ff
	v_cndmask_b32_e64 v28, 0, 1, s0
	v_cmp_ne_u32_e64 s0, v30, v39
	v_and_or_b32 v17, 0x1ff, v18, v17
	v_lshrrev_b32_e32 v14, 16, v14
	v_mul_f16_e32 v5, v88, v5
	v_or_b32_e32 v28, v42, v28
	s_wait_alu 0xf1ff
	v_cndmask_b32_e64 v30, 0, 1, s0
	v_cmp_gt_i32_e64 s0, 1, v21
	v_fma_f16 v4, v85, v4, -v5
	s_delay_alu instid0(VALU_DEP_3) | instskip(SKIP_1) | instid1(VALU_DEP_3)
	v_or_b32_e32 v30, v43, v30
	s_wait_alu 0xf1ff
	v_cndmask_b32_e64 v20, v34, v20, s0
	v_cmp_gt_i32_e64 s0, 1, v27
	v_cvt_f32_f16_e32 v4, v4
	s_delay_alu instid0(VALU_DEP_3) | instskip(SKIP_1) | instid1(VALU_DEP_3)
	v_and_b32_e32 v31, 7, v20
	s_wait_alu 0xf1ff
	v_cndmask_b32_e64 v24, v35, v24, s0
	v_cmp_gt_i32_e64 s0, 1, v29
	v_lshrrev_b32_e32 v20, 2, v20
	v_cmp_eq_u32_e64 s3, 3, v31
	s_delay_alu instid0(VALU_DEP_4)
	v_and_b32_e32 v34, 7, v24
	s_wait_alu 0xf1ff
	v_cndmask_b32_e64 v28, v37, v28, s0
	v_cmp_gt_i32_e64 s0, 1, v32
	v_lshrrev_b32_e32 v24, 2, v24
	v_cmp_lt_i32_e64 s4, 5, v34
	s_delay_alu instid0(VALU_DEP_4)
	v_and_b32_e32 v33, 7, v28
	v_lshrrev_b32_e32 v28, 2, v28
	s_wait_alu 0xf1ff
	v_cndmask_b32_e64 v30, v40, v30, s0
	v_cmp_lt_i32_e64 s0, 5, v31
	v_cmp_lt_i32_e64 s1, 5, v33
	v_cmp_eq_u32_e64 s2, 3, v33
	s_delay_alu instid0(VALU_DEP_4) | instskip(NEXT) | instid1(VALU_DEP_4)
	v_and_b32_e32 v31, 7, v30
	s_or_b32 s0, s3, s0
	v_lshrrev_b32_e32 v30, 2, v30
	s_wait_alu 0xfffe
	v_add_co_ci_u32_e64 v20, s0, 0, v20, s0
	s_or_b32 s1, s2, s1
	v_cmp_gt_i32_e64 s2, 31, v21
	s_wait_alu 0xfffe
	v_add_co_ci_u32_e64 v28, s1, 0, v28, s1
	v_cmp_gt_i32_e64 s1, 31, v29
	v_cmp_lt_i32_e64 s0, 5, v31
	s_wait_alu 0xf1ff
	v_cndmask_b32_e64 v20, 0x7c00, v20, s2
	v_cmp_eq_u32_e64 s2, 0x40f, v29
	v_cndmask_b32_e64 v28, 0x7c00, v28, s1
	v_cmp_eq_u32_e64 s1, 3, v31
	s_wait_alu 0xf1ff
	s_delay_alu instid0(VALU_DEP_2) | instskip(NEXT) | instid1(VALU_DEP_2)
	v_cndmask_b32_e64 v11, v28, v11, s2
	s_or_b32 s0, s1, s0
	v_cmp_gt_i32_e64 s1, 31, v32
	s_wait_alu 0xfffe
	v_add_co_ci_u32_e64 v28, s0, 0, v30, s0
	v_cmp_eq_u32_e64 s0, 0x40f, v21
	v_and_or_b32 v11, 0x8000, v12, v11
	v_bfe_u32 v21, v2, 20, 11
	s_wait_alu 0xf1ff
	v_cndmask_b32_e64 v12, 0x7c00, v28, s1
	v_cndmask_b32_e64 v7, v20, v7, s0
	v_cmp_eq_u32_e64 s0, 3, v34
	v_lshrrev_b32_e32 v20, 8, v2
	s_delay_alu instid0(VALU_DEP_3) | instskip(NEXT) | instid1(VALU_DEP_3)
	v_and_or_b32 v7, 0x8000, v8, v7
	s_or_b32 s0, s0, s4
	v_and_b32_e32 v8, 0xffff, v11
	s_wait_alu 0xfffe
	v_add_co_ci_u32_e64 v11, s0, 0, v24, s0
	v_cmp_eq_u32_e64 s0, 0x40f, v32
	v_and_or_b32 v1, 0xffe, v20, v1
	v_lshrrev_b32_e32 v24, 16, v10
	s_wait_alu 0xf1ff
	s_delay_alu instid0(VALU_DEP_3)
	v_cndmask_b32_e64 v12, v12, v13, s0
	v_cmp_ne_u32_e64 s0, 0, v9
	v_lshl_or_b32 v13, v7, 16, v8
	v_cvt_f64_f32_e32 v[7:8], v19
	v_sub_nc_u32_e32 v19, 0x3f1, v21
	v_or_b32_e32 v20, 0x1000, v1
	s_wait_alu 0xf1ff
	v_cndmask_b32_e64 v9, 0, 1, s0
	v_cmp_gt_i32_e64 s0, 31, v27
	v_and_or_b32 v14, 0x8000, v14, v12
	v_med3_i32 v19, v19, 0, 13
	s_delay_alu instid0(VALU_DEP_4)
	v_lshl_or_b32 v9, v9, 9, 0x7c00
	s_wait_alu 0xf1ff
	v_cndmask_b32_e64 v11, 0x7c00, v11, s0
	v_cmp_eq_u32_e64 s0, 0x40f, v27
	v_lshrrev_b32_e32 v27, v19, v20
	s_wait_alu 0xf1ff
	s_delay_alu instid0(VALU_DEP_2) | instskip(SKIP_3) | instid1(VALU_DEP_3)
	v_cndmask_b32_e64 v11, v11, v9, s0
	v_add_co_u32 v9, s0, v25, v22
	s_wait_alu 0xf1ff
	v_add_co_ci_u32_e64 v10, s0, v26, v23, s0
	v_and_or_b32 v22, 0x8000, v24, v11
	v_lshlrev_b32_e32 v11, v19, v27
	v_cmp_ne_u32_e64 s0, 0, v17
	v_lshrrev_b32_e32 v17, 8, v18
	v_bfe_u32 v19, v18, 20, 11
	global_store_b32 v[9:10], v13, off
	s_wait_alu 0xf1ff
	v_cndmask_b32_e64 v12, 0, 1, s0
	v_cmp_ne_u32_e64 s0, v11, v20
	v_add_nc_u32_e32 v20, 0xfffffc10, v21
	v_sub_nc_u32_e32 v5, 0x3f1, v19
	v_add_nc_u32_e32 v19, 0xfffffc10, v19
	v_and_or_b32 v17, 0xffe, v17, v12
	s_wait_alu 0xf1ff
	v_cndmask_b32_e64 v11, 0, 1, s0
	v_lshl_or_b32 v12, v20, 12, v1
	v_cmp_gt_i32_e64 s0, 1, v20
	v_med3_i32 v5, v5, 0, 13
	v_or_b32_e32 v21, 0x1000, v17
	v_or_b32_e32 v11, v27, v11
	v_mul_f64_e32 v[7:8], s[6:7], v[7:8]
	s_wait_alu 0xf1ff
	s_delay_alu instid0(VALU_DEP_2)
	v_cndmask_b32_e64 v23, v12, v11, s0
	v_cvt_f64_f32_e32 v[11:12], v4
	v_and_b32_e32 v4, 0xffff, v14
	v_lshrrev_b32_e32 v14, v5, v21
	s_mul_u64 s[0:1], s[8:9], 0x90
	v_and_b32_e32 v13, 7, v23
	s_wait_alu 0xfffe
	s_lshl_b64 s[4:5], s[0:1], 2
	v_lshl_or_b32 v22, v22, 16, v4
	v_lshlrev_b32_e32 v4, v5, v14
	v_cmp_lt_i32_e64 s0, 5, v13
	v_cmp_eq_u32_e64 s1, 3, v13
	v_lshrrev_b32_e32 v13, 2, v23
	s_delay_alu instid0(VALU_DEP_4)
	v_cmp_ne_u32_e64 s2, v4, v21
	ds_load_2addr_b32 v[4:5], v62 offset0:171 offset1:198
	s_or_b32 s0, s1, s0
	s_wait_alu 0xfffe
	v_add_co_ci_u32_e64 v13, s0, 0, v13, s0
	v_cmp_ne_u32_e64 s0, 0, v1
	v_cndmask_b32_e64 v21, 0, 1, s2
	s_wait_alu 0xf1ff
	s_delay_alu instid0(VALU_DEP_2) | instskip(SKIP_1) | instid1(VALU_DEP_3)
	v_cndmask_b32_e64 v1, 0, 1, s0
	v_cmp_gt_i32_e64 s0, 31, v20
	v_or_b32_e32 v14, v14, v21
	v_lshl_or_b32 v21, v19, 12, v17
	s_delay_alu instid0(VALU_DEP_4)
	v_lshl_or_b32 v1, v1, 9, 0x7c00
	s_wait_alu 0xf1ff
	v_cndmask_b32_e64 v13, 0x7c00, v13, s0
	v_cmp_gt_i32_e64 s0, 1, v19
	v_and_or_b32 v7, 0x1ff, v8, v7
	s_wait_dscnt 0x0
	v_lshrrev_b32_e32 v23, 16, v4
	s_wait_alu 0xf1ff
	v_cndmask_b32_e64 v14, v21, v14, s0
	v_add_co_u32 v9, s0, v9, s4
	s_wait_alu 0xf1ff
	v_add_co_ci_u32_e64 v10, s0, s5, v10, s0
	v_cmp_eq_u32_e64 s0, 0x40f, v20
	v_lshrrev_b32_e32 v21, 16, v2
	v_and_b32_e32 v20, 7, v14
	v_cmp_ne_u32_e64 s2, 0, v7
	global_store_b32 v[9:10], v22, off
	s_wait_alu 0xf1ff
	v_cndmask_b32_e64 v13, v13, v1, s0
	v_mul_f64_e32 v[1:2], s[6:7], v[11:12]
	v_mul_f16_e32 v12, v86, v23
	v_cmp_lt_i32_e64 s0, 5, v20
	v_cmp_eq_u32_e64 s1, 3, v20
	v_lshrrev_b32_e32 v11, 2, v14
	v_cndmask_b32_e64 v7, 0, 1, s2
	v_lshrrev_b32_e32 v14, 8, v8
	v_bfe_u32 v20, v8, 20, 11
	v_fmac_f16_e32 v12, v83, v4
	s_or_b32 s0, s1, s0
	v_mul_f16_e32 v4, v86, v4
	s_wait_alu 0xfffe
	v_add_co_ci_u32_e64 v24, s0, 0, v11, s0
	v_and_or_b32 v7, 0xffe, v14, v7
	v_sub_nc_u32_e32 v11, 0x3f1, v20
	v_cvt_f32_f16_e32 v12, v12
	v_cmp_ne_u32_e64 s0, 0, v17
	v_fma_f16 v4, v83, v23, -v4
	v_or_b32_e32 v17, 0x1000, v7
	v_med3_i32 v27, v11, 0, 13
	v_cvt_f64_f32_e32 v[11:12], v12
	s_wait_alu 0xf1ff
	v_cndmask_b32_e64 v14, 0, 1, s0
	v_cmp_gt_i32_e64 s0, 31, v19
	v_and_or_b32 v21, 0x8000, v21, v13
	v_lshrrev_b32_e32 v28, v27, v17
	v_cvt_f32_f16_e32 v4, v4
	v_lshl_or_b32 v14, v14, 9, 0x7c00
	s_wait_alu 0xf1ff
	v_cndmask_b32_e64 v24, 0x7c00, v24, s0
	v_cmp_eq_u32_e64 s0, 0x40f, v19
	v_lshlrev_b32_e32 v19, v27, v28
	v_add_nc_u32_e32 v27, 0xfffffc10, v20
	v_and_b32_e32 v21, 0xffff, v21
	v_lshrrev_b32_e32 v8, 16, v8
	s_wait_alu 0xf1ff
	v_cndmask_b32_e64 v22, v24, v14, s0
	v_lshrrev_b32_e32 v24, 16, v18
	v_cmp_ne_u32_e64 s0, v19, v17
	v_mad_co_u64_u32 v[13:14], null, s8, v81, 0
	v_and_or_b32 v18, 0x1ff, v2, v1
	v_lshl_or_b32 v23, v27, 12, v7
	s_wait_alu 0xf1ff
	v_cndmask_b32_e64 v17, 0, 1, s0
	v_lshrrev_b32_e32 v29, 8, v2
	v_bfe_u32 v30, v2, 20, 11
	v_cmp_ne_u32_e64 s0, 0, v18
	v_mov_b32_e32 v1, v14
	v_or_b32_e32 v14, v28, v17
	v_cvt_f64_f32_e32 v[17:18], v4
	v_mad_co_u64_u32 v[9:10], null, 0xfffffe2c, s8, v[9:10]
	s_wait_alu 0xf1ff
	v_cndmask_b32_e64 v28, 0, 1, s0
	v_cmp_gt_i32_e64 s0, 1, v27
	v_mad_co_u64_u32 v[19:20], null, s9, v81, v[1:2]
	v_and_or_b32 v20, 0x8000, v24, v22
	s_delay_alu instid0(VALU_DEP_4)
	v_and_or_b32 v4, 0xffe, v29, v28
	s_wait_alu 0xf1ff
	v_cndmask_b32_e64 v1, v23, v14, s0
	v_sub_nc_u32_e32 v14, 0x3f1, v30
	v_lshrrev_b32_e32 v2, 16, v2
	v_mul_f64_e32 v[11:12], s[6:7], v[11:12]
	v_or_b32_e32 v23, 0x1000, v4
	v_and_b32_e32 v22, 7, v1
	v_med3_i32 v24, v14, 0, 13
	v_lshrrev_b32_e32 v1, 2, v1
	v_mov_b32_e32 v14, v19
	v_lshl_or_b32 v21, v20, 16, v21
	v_cmp_lt_i32_e64 s0, 5, v22
	v_cmp_eq_u32_e64 s1, 3, v22
	v_lshrrev_b32_e32 v19, v24, v23
	v_lshrrev_b32_e32 v22, 16, v3
	v_lshlrev_b64_e32 v[13:14], 2, v[13:14]
	s_delay_alu instid0(VALU_DEP_4) | instskip(NEXT) | instid1(VALU_DEP_3)
	s_or_b32 s0, s1, s0
	v_lshlrev_b32_e32 v20, v24, v19
	s_wait_alu 0xfffe
	v_add_co_ci_u32_e64 v1, s0, 0, v1, s0
	v_cmp_ne_u32_e64 s0, 0, v7
	v_mul_f16_e32 v24, v84, v22
	s_wait_alu 0xf1ff
	s_delay_alu instid0(VALU_DEP_2)
	v_cndmask_b32_e64 v7, 0, 1, s0
	v_cmp_ne_u32_e64 s0, v20, v23
	v_add_nc_u32_e32 v23, 0xfffffc10, v30
	v_fmac_f16_e32 v24, v82, v3
	v_mul_f64_e32 v[17:18], s[6:7], v[17:18]
	v_lshl_or_b32 v7, v7, 9, 0x7c00
	s_wait_alu 0xf1ff
	v_cndmask_b32_e64 v20, 0, 1, s0
	v_cmp_gt_i32_e64 s0, 31, v27
	v_mul_f16_e32 v3, v84, v3
	s_delay_alu instid0(VALU_DEP_3) | instskip(SKIP_1) | instid1(VALU_DEP_3)
	v_or_b32_e32 v19, v19, v20
	s_wait_alu 0xf1ff
	v_cndmask_b32_e64 v1, 0x7c00, v1, s0
	v_lshl_or_b32 v20, v23, 12, v4
	v_cmp_gt_i32_e64 s0, 1, v23
	v_fma_f16 v3, v82, v22, -v3
	s_wait_alu 0xf1ff
	s_delay_alu instid0(VALU_DEP_2)
	v_cndmask_b32_e64 v28, v20, v19, s0
	v_cvt_f32_f16_e32 v19, v24
	v_add_co_u32 v13, s0, v25, v13
	s_wait_alu 0xf1ff
	v_add_co_ci_u32_e64 v14, s0, v26, v14, s0
	v_cmp_eq_u32_e64 s0, 0x40f, v27
	v_and_b32_e32 v24, 7, v28
	v_cvt_f64_f32_e32 v[19:20], v19
	v_bfe_u32 v25, v12, 20, 11
	global_store_b32 v[13:14], v21, off
	s_wait_alu 0xf1ff
	v_cndmask_b32_e64 v1, v1, v7, s0
	v_and_or_b32 v7, 0x1ff, v12, v11
	v_cmp_lt_i32_e64 s0, 5, v24
	v_cmp_eq_u32_e64 s1, 3, v24
	v_lshrrev_b32_e32 v11, 2, v28
	v_lshrrev_b32_e32 v24, 8, v12
	v_cmp_ne_u32_e64 s2, 0, v7
	v_and_or_b32 v22, 0x8000, v8, v1
	s_or_b32 s0, s1, s0
	v_lshrrev_b32_e32 v12, 16, v12
	s_wait_alu 0xfffe
	v_add_co_ci_u32_e64 v11, s0, 0, v11, s0
	v_cndmask_b32_e64 v7, 0, 1, s2
	v_cmp_ne_u32_e64 s0, 0, v4
	v_and_or_b32 v17, 0x1ff, v18, v17
	v_lshrrev_b32_e32 v27, 8, v18
	v_bfe_u32 v28, v18, 20, 11
	v_and_or_b32 v24, 0xffe, v24, v7
	s_wait_alu 0xf1ff
	v_cndmask_b32_e64 v4, 0, 1, s0
	v_sub_nc_u32_e32 v7, 0x3f1, v25
	v_cmp_gt_i32_e64 s0, 31, v23
	v_and_b32_e32 v22, 0xffff, v22
	v_or_b32_e32 v26, 0x1000, v24
	v_lshl_or_b32 v4, v4, 9, 0x7c00
	v_med3_i32 v7, v7, 0, 13
	s_wait_alu 0xf1ff
	v_cndmask_b32_e64 v11, 0x7c00, v11, s0
	v_cmp_eq_u32_e64 s0, 0x40f, v23
	v_lshrrev_b32_e32 v18, 16, v18
	s_wait_alu 0xf1ff
	s_delay_alu instid0(VALU_DEP_2) | instskip(SKIP_2) | instid1(VALU_DEP_3)
	v_cndmask_b32_e64 v4, v11, v4, s0
	v_lshrrev_b32_e32 v11, v7, v26
	v_cmp_ne_u32_e64 s0, 0, v17
	v_and_or_b32 v23, 0x8000, v2, v4
	s_delay_alu instid0(VALU_DEP_3)
	v_lshlrev_b32_e32 v1, v7, v11
	v_cvt_f32_f16_e32 v2, v3
	s_wait_alu 0xf1ff
	v_cndmask_b32_e64 v17, 0, 1, s0
	v_mul_f64_e32 v[3:4], s[6:7], v[19:20]
	v_add_nc_u32_e32 v20, 0xfffffc10, v25
	v_cmp_ne_u32_e64 s0, v1, v26
	v_cvt_f64_f32_e32 v[7:8], v2
	ds_load_2addr_b32 v[1:2], v62 offset0:54 offset1:81
	v_and_or_b32 v17, 0xffe, v27, v17
	v_sub_nc_u32_e32 v25, 0x3f1, v28
	s_wait_alu 0xf1ff
	v_cndmask_b32_e64 v19, 0, 1, s0
	v_cmp_gt_i32_e64 s0, 1, v20
	v_or_b32_e32 v26, 0x1000, v17
	v_med3_i32 v25, v25, 0, 13
	s_delay_alu instid0(VALU_DEP_4) | instskip(SKIP_1) | instid1(VALU_DEP_3)
	v_or_b32_e32 v11, v11, v19
	v_lshl_or_b32 v19, v20, 12, v24
	v_lshrrev_b32_e32 v13, v25, v26
	s_wait_alu 0xf1ff
	s_delay_alu instid0(VALU_DEP_2)
	v_cndmask_b32_e64 v11, v19, v11, s0
	s_mul_i32 s0, s9, 0xfffffe2c
	v_lshl_or_b32 v19, v23, 16, v22
	v_lshlrev_b32_e32 v21, v25, v13
	s_wait_alu 0xfffe
	s_sub_co_i32 s3, s0, s8
	v_and_b32_e32 v14, 7, v11
	v_lshrrev_b32_e32 v11, 2, v11
	s_wait_dscnt 0x0
	v_lshrrev_b32_e32 v22, 16, v1
	v_cmp_ne_u32_e64 s2, v21, v26
	v_add_nc_u32_e32 v23, 0xfffffc10, v28
	v_cmp_lt_i32_e64 s0, 5, v14
	v_cmp_eq_u32_e64 s1, 3, v14
	v_mul_f16_e32 v21, v80, v22
	s_wait_alu 0xf1ff
	v_cndmask_b32_e64 v14, 0, 1, s2
	s_wait_alu 0xfffe
	v_add_nc_u32_e32 v10, s3, v10
	s_or_b32 s0, s1, s0
	v_fmac_f16_e32 v21, v78, v1
	s_wait_alu 0xfffe
	v_add_co_ci_u32_e64 v11, s0, 0, v11, s0
	v_cmp_ne_u32_e64 s0, 0, v24
	v_or_b32_e32 v13, v13, v14
	v_lshl_or_b32 v14, v23, 12, v17
	v_and_or_b32 v3, 0x1ff, v4, v3
	v_mul_f64_e32 v[7:8], s[6:7], v[7:8]
	s_wait_alu 0xf1ff
	v_cndmask_b32_e64 v24, 0, 1, s0
	v_cmp_gt_i32_e64 s0, 1, v23
	v_cvt_f32_f16_e32 v21, v21
	v_bfe_u32 v26, v4, 20, 11
	v_mul_f16_e32 v1, v80, v1
	v_lshl_or_b32 v24, v24, 9, 0x7c00
	s_wait_alu 0xf1ff
	v_cndmask_b32_e64 v25, v14, v13, s0
	v_cmp_ne_u32_e64 s0, 0, v3
	v_cvt_f64_f32_e32 v[13:14], v21
	v_lshrrev_b32_e32 v21, 8, v4
	v_fma_f16 v1, v78, v22, -v1
	v_and_b32_e32 v27, 7, v25
	s_wait_alu 0xf1ff
	v_cndmask_b32_e64 v3, 0, 1, s0
	v_cmp_gt_i32_e64 s0, 31, v20
	global_store_b32 v[9:10], v19, off
	v_cvt_f32_f16_e32 v1, v1
	v_cmp_eq_u32_e64 s1, 3, v27
	v_and_or_b32 v3, 0xffe, v21, v3
	v_sub_nc_u32_e32 v21, 0x3f1, v26
	s_wait_alu 0xf1ff
	v_cndmask_b32_e64 v11, 0x7c00, v11, s0
	v_cmp_eq_u32_e64 s0, 0x40f, v20
	v_lshrrev_b32_e32 v4, 16, v4
	v_or_b32_e32 v20, 0x1000, v3
	v_med3_i32 v21, v21, 0, 13
	s_wait_alu 0xf1ff
	v_cndmask_b32_e64 v11, v11, v24, s0
	v_cmp_lt_i32_e64 s0, 5, v27
	v_lshrrev_b32_e32 v24, 2, v25
	v_lshrrev_b32_e32 v25, v21, v20
	s_delay_alu instid0(VALU_DEP_4) | instskip(NEXT) | instid1(VALU_DEP_4)
	v_and_or_b32 v22, 0x8000, v12, v11
	s_or_b32 s0, s1, s0
	v_cvt_f64_f32_e32 v[11:12], v1
	s_wait_alu 0xfffe
	v_add_co_ci_u32_e64 v24, s0, 0, v24, s0
	v_lshlrev_b32_e32 v21, v21, v25
	v_cmp_gt_i32_e64 s0, 31, v23
	v_and_or_b32 v7, 0x1ff, v8, v7
	s_wait_alu 0xf1ff
	s_delay_alu instid0(VALU_DEP_2)
	v_cndmask_b32_e64 v24, 0x7c00, v24, s0
	v_cmp_ne_u32_e64 s0, v21, v20
	v_add_nc_u32_e32 v21, 0xfffffc10, v26
	v_bfe_u32 v26, v8, 20, 11
	v_mul_f64_e32 v[13:14], s[6:7], v[13:14]
	s_wait_alu 0xf1ff
	v_cndmask_b32_e64 v20, 0, 1, s0
	v_cmp_ne_u32_e64 s0, 0, v17
	s_delay_alu instid0(VALU_DEP_2) | instskip(SKIP_1) | instid1(VALU_DEP_2)
	v_or_b32_e32 v17, v25, v20
	s_wait_alu 0xf1ff
	v_cndmask_b32_e64 v1, 0, 1, s0
	v_cmp_ne_u32_e64 s0, 0, v7
	v_lshl_or_b32 v20, v21, 12, v3
	v_lshrrev_b32_e32 v25, 8, v8
	s_delay_alu instid0(VALU_DEP_4) | instskip(SKIP_3) | instid1(VALU_DEP_2)
	v_lshl_or_b32 v1, v1, 9, 0x7c00
	s_wait_alu 0xf1ff
	v_cndmask_b32_e64 v7, 0, 1, s0
	v_cmp_gt_i32_e64 s0, 1, v21
	v_and_or_b32 v7, 0xffe, v25, v7
	s_wait_alu 0xf1ff
	s_delay_alu instid0(VALU_DEP_2) | instskip(SKIP_4) | instid1(VALU_DEP_4)
	v_cndmask_b32_e64 v17, v20, v17, s0
	v_sub_nc_u32_e32 v20, 0x3f1, v26
	v_cmp_eq_u32_e64 s0, 0x40f, v23
	v_or_b32_e32 v23, 0x1000, v7
	v_mul_f64_e32 v[11:12], s[6:7], v[11:12]
	v_med3_i32 v20, v20, 0, 13
	s_wait_alu 0xf1ff
	v_cndmask_b32_e64 v1, v24, v1, s0
	v_and_b32_e32 v24, 7, v17
	v_lshrrev_b32_e32 v17, 2, v17
	s_delay_alu instid0(VALU_DEP_3) | instskip(SKIP_4) | instid1(VALU_DEP_4)
	v_and_or_b32 v1, 0x8000, v18, v1
	v_and_b32_e32 v18, 0xffff, v22
	v_lshrrev_b32_e32 v22, v20, v23
	v_cmp_lt_i32_e64 s0, 5, v24
	v_cmp_eq_u32_e64 s1, 3, v24
	v_lshl_or_b32 v1, v1, 16, v18
	s_delay_alu instid0(VALU_DEP_4) | instskip(SKIP_1) | instid1(VALU_DEP_4)
	v_lshlrev_b32_e32 v19, v20, v22
	v_and_or_b32 v13, 0x1ff, v14, v13
	s_or_b32 s0, s1, s0
	v_bfe_u32 v24, v14, 20, 11
	s_wait_alu 0xfffe
	v_add_co_ci_u32_e64 v17, s0, 0, v17, s0
	v_cmp_ne_u32_e64 s0, v19, v23
	v_add_nc_u32_e32 v19, 0xfffffc10, v26
	v_lshrrev_b32_e32 v23, 8, v14
	v_lshrrev_b32_e32 v14, 16, v14
	s_wait_alu 0xf1ff
	v_cndmask_b32_e64 v18, 0, 1, s0
	v_cmp_gt_i32_e64 s0, 31, v21
	v_lshl_or_b32 v20, v19, 12, v7
	s_delay_alu instid0(VALU_DEP_3) | instskip(SKIP_1) | instid1(VALU_DEP_3)
	v_or_b32_e32 v18, v22, v18
	s_wait_alu 0xf1ff
	v_cndmask_b32_e64 v17, 0x7c00, v17, s0
	v_cmp_ne_u32_e64 s0, 0, v3
	v_lshrrev_b32_e32 v22, 16, v5
	s_wait_alu 0xf1ff
	s_delay_alu instid0(VALU_DEP_2) | instskip(SKIP_3) | instid1(VALU_DEP_4)
	v_cndmask_b32_e64 v3, 0, 1, s0
	v_cmp_gt_i32_e64 s0, 1, v19
	v_and_or_b32 v11, 0x1ff, v12, v11
	v_bfe_u32 v26, v12, 20, 11
	v_lshl_or_b32 v3, v3, 9, 0x7c00
	s_wait_alu 0xf1ff
	v_cndmask_b32_e64 v20, v20, v18, s0
	v_cmp_ne_u32_e64 s0, 0, v13
	v_mul_f16_e32 v18, v79, v22
	s_delay_alu instid0(VALU_DEP_3) | instskip(SKIP_1) | instid1(VALU_DEP_3)
	v_and_b32_e32 v25, 7, v20
	s_wait_alu 0xf1ff
	v_cndmask_b32_e64 v13, 0, 1, s0
	s_delay_alu instid0(VALU_DEP_3)
	v_fmac_f16_e32 v18, v76, v5
	v_cmp_eq_u32_e64 s0, 0x40f, v21
	v_lshrrev_b32_e32 v20, 2, v20
	v_cmp_eq_u32_e64 s1, 3, v25
	v_and_or_b32 v13, 0xffe, v23, v13
	v_sub_nc_u32_e32 v23, 0x3f1, v24
	s_wait_alu 0xf1ff
	v_cndmask_b32_e64 v3, v17, v3, s0
	v_cvt_f32_f16_e32 v17, v18
	v_cmp_lt_i32_e64 s0, 5, v25
	v_or_b32_e32 v21, 0x1000, v13
	v_med3_i32 v23, v23, 0, 13
	v_mul_f16_e32 v5, v79, v5
	v_cvt_f64_f32_e32 v[17:18], v17
	s_or_b32 s0, s1, s0
	s_wait_alu 0xfffe
	v_add_co_ci_u32_e64 v20, s0, 0, v20, s0
	v_lshrrev_b32_e32 v25, v23, v21
	v_cmp_ne_u32_e64 s0, 0, v7
	v_fma_f16 v5, v76, v22, -v5
	s_delay_alu instid0(VALU_DEP_3) | instskip(SKIP_1) | instid1(VALU_DEP_3)
	v_lshlrev_b32_e32 v23, v23, v25
	s_wait_alu 0xf1ff
	v_cndmask_b32_e64 v7, 0, 1, s0
	v_cmp_gt_i32_e64 s0, 31, v19
	v_cvt_f32_f16_e32 v5, v5
	s_delay_alu instid0(VALU_DEP_3) | instskip(SKIP_1) | instid1(VALU_DEP_3)
	v_lshl_or_b32 v7, v7, 9, 0x7c00
	s_wait_alu 0xf1ff
	v_cndmask_b32_e64 v20, 0x7c00, v20, s0
	v_cmp_ne_u32_e64 s0, v23, v21
	v_add_nc_u32_e32 v23, 0xfffffc10, v24
	v_lshrrev_b32_e32 v24, 8, v12
	s_wait_alu 0xf1ff
	s_delay_alu instid0(VALU_DEP_3) | instskip(SKIP_1) | instid1(VALU_DEP_2)
	v_cndmask_b32_e64 v21, 0, 1, s0
	v_cmp_ne_u32_e64 s0, 0, v11
	v_or_b32_e32 v21, v25, v21
	s_wait_alu 0xf1ff
	s_delay_alu instid0(VALU_DEP_2) | instskip(SKIP_2) | instid1(VALU_DEP_3)
	v_cndmask_b32_e64 v11, 0, 1, s0
	v_lshl_or_b32 v25, v23, 12, v13
	v_cmp_gt_i32_e64 s0, 1, v23
	v_and_or_b32 v11, 0xffe, v24, v11
	v_sub_nc_u32_e32 v24, 0x3f1, v26
	s_wait_alu 0xf1ff
	s_delay_alu instid0(VALU_DEP_3)
	v_cndmask_b32_e64 v21, v25, v21, s0
	v_cmp_eq_u32_e64 s0, 0x40f, v19
	v_mul_f64_e32 v[17:18], s[6:7], v[17:18]
	v_or_b32_e32 v22, 0x1000, v11
	v_med3_i32 v24, v24, 0, 13
	v_and_b32_e32 v25, 7, v21
	s_wait_alu 0xf1ff
	v_cndmask_b32_e64 v19, v20, v7, s0
	v_lshrrev_b32_e32 v20, 16, v8
	v_cvt_f64_f32_e32 v[7:8], v5
	v_lshrrev_b32_e32 v27, v24, v22
	v_add_co_u32 v9, s0, v9, s4
	s_wait_alu 0xf1ff
	v_add_co_ci_u32_e64 v10, s0, s5, v10, s0
	s_delay_alu instid0(VALU_DEP_3)
	v_lshlrev_b32_e32 v5, v24, v27
	v_cmp_lt_i32_e64 s0, 5, v25
	v_cmp_eq_u32_e64 s1, 3, v25
	v_lshrrev_b32_e32 v21, 2, v21
	v_and_or_b32 v24, 0x8000, v4, v3
	v_cmp_ne_u32_e64 s2, v5, v22
	ds_load_2addr_b32 v[3:4], v6 offset0:86 offset1:113
	s_or_b32 s0, s1, s0
	v_and_or_b32 v19, 0x8000, v20, v19
	s_wait_alu 0xfffe
	v_add_co_ci_u32_e64 v21, s0, 0, v21, s0
	v_cndmask_b32_e64 v5, 0, 1, s2
	v_add_nc_u32_e32 v20, 0xfffffc10, v26
	v_cmp_ne_u32_e64 s0, 0, v13
	v_and_b32_e32 v6, 0xffff, v24
	global_store_b32 v[9:10], v1, off
	v_or_b32_e32 v5, v27, v5
	v_lshl_or_b32 v22, v20, 12, v11
	s_wait_alu 0xf1ff
	v_cndmask_b32_e64 v13, 0, 1, s0
	v_cmp_gt_i32_e64 s0, 1, v20
	s_movk_i32 s2, 0xfefb
	s_mov_b32 s3, -1
	s_delay_alu instid0(VALU_DEP_2)
	v_lshl_or_b32 v13, v13, 9, 0x7c00
	s_wait_alu 0xf1ff
	v_cndmask_b32_e64 v5, v22, v5, s0
	v_cmp_gt_i32_e64 s0, 31, v23
	v_lshl_or_b32 v22, v19, 16, v6
	s_wait_dscnt 0x0
	v_lshrrev_b32_e32 v19, 16, v3
	v_and_b32_e32 v1, 7, v5
	s_wait_alu 0xf1ff
	v_cndmask_b32_e64 v21, 0x7c00, v21, s0
	v_cmp_eq_u32_e64 s0, 0x40f, v23
	s_delay_alu instid0(VALU_DEP_3) | instskip(SKIP_1) | instid1(VALU_DEP_2)
	v_cmp_eq_u32_e64 s1, 3, v1
	s_wait_alu 0xf1ff
	v_cndmask_b32_e64 v13, v21, v13, s0
	v_cmp_lt_i32_e64 s0, 5, v1
	v_lshrrev_b32_e32 v1, 2, v5
	v_mul_f64_e32 v[5:6], s[6:7], v[7:8]
	v_mul_f16_e32 v7, v77, v19
	v_and_or_b32 v8, 0x1ff, v18, v17
	s_or_b32 s0, s1, s0
	v_lshrrev_b32_e32 v17, 8, v18
	s_wait_alu 0xfffe
	v_add_co_ci_u32_e64 v1, s0, 0, v1, s0
	v_fmac_f16_e32 v7, v75, v3
	v_cmp_ne_u32_e64 s0, 0, v8
	v_bfe_u32 v21, v18, 20, 11
	v_mul_f16_e32 v3, v77, v3
	v_and_or_b32 v13, 0x8000, v14, v13
	v_cvt_f32_f16_e32 v7, v7
	s_wait_alu 0xf1ff
	v_cndmask_b32_e64 v8, 0, 1, s0
	v_cmp_ne_u32_e64 s0, 0, v11
	v_sub_nc_u32_e32 v23, 0x3f1, v21
	v_fma_f16 v3, v75, v19, -v3
	v_add_nc_u32_e32 v21, 0xfffffc10, v21
	v_and_or_b32 v17, 0xffe, v17, v8
	v_cvt_f64_f32_e32 v[7:8], v7
	s_wait_alu 0xf1ff
	v_cndmask_b32_e64 v11, 0, 1, s0
	v_cmp_gt_i32_e64 s0, 31, v20
	v_med3_i32 v23, v23, 0, 13
	v_or_b32_e32 v24, 0x1000, v17
	v_cvt_f32_f16_e32 v3, v3
	v_lshl_or_b32 v11, v11, 9, 0x7c00
	s_wait_alu 0xf1ff
	v_cndmask_b32_e64 v1, 0x7c00, v1, s0
	v_cmp_eq_u32_e64 s0, 0x40f, v20
	v_lshrrev_b32_e32 v20, v23, v24
	v_and_b32_e32 v13, 0xffff, v13
	v_lshrrev_b32_e32 v18, 16, v18
	s_wait_alu 0xf1ff
	v_cndmask_b32_e64 v1, v1, v11, s0
	v_lshrrev_b32_e32 v11, 16, v12
	v_add_co_u32 v9, s0, v9, s4
	s_wait_alu 0xf1ff
	v_add_co_ci_u32_e64 v10, s0, s5, v10, s0
	s_delay_alu instid0(VALU_DEP_3) | instskip(SKIP_3) | instid1(VALU_DEP_3)
	v_and_or_b32 v1, 0x8000, v11, v1
	v_lshlrev_b32_e32 v11, v23, v20
	v_and_or_b32 v5, 0x1ff, v6, v5
	v_bfe_u32 v19, v6, 20, 11
	v_cmp_ne_u32_e64 s0, v11, v24
	v_cvt_f64_f32_e32 v[11:12], v3
	v_lshl_or_b32 v24, v1, 16, v13
	s_wait_alu 0xf1ff
	s_delay_alu instid0(VALU_DEP_3) | instskip(SKIP_3) | instid1(VALU_DEP_4)
	v_cndmask_b32_e64 v14, 0, 1, s0
	v_cmp_ne_u32_e64 s0, 0, v5
	v_lshrrev_b32_e32 v5, 8, v6
	v_lshrrev_b32_e32 v6, 16, v6
	v_or_b32_e32 v14, v20, v14
	s_wait_alu 0xf1ff
	v_cndmask_b32_e64 v3, 0, 1, s0
	v_lshl_or_b32 v20, v21, 12, v17
	v_cmp_gt_i32_e64 s0, 1, v21
	v_mul_f64_e32 v[7:8], s[6:7], v[7:8]
	s_delay_alu instid0(VALU_DEP_4)
	v_and_or_b32 v3, 0xffe, v5, v3
	v_sub_nc_u32_e32 v5, 0x3f1, v19
	s_wait_alu 0xf1ff
	v_cndmask_b32_e64 v20, v20, v14, s0
	s_mul_u64 s[0:1], s[8:9], s[2:3]
	v_or_b32_e32 v23, 0x1000, v3
	v_med3_i32 v5, v5, 0, 13
	s_wait_alu 0xfffe
	s_lshl_b64 s[8:9], s[0:1], 2
	v_and_b32_e32 v1, 7, v20
	s_wait_alu 0xfffe
	v_add_co_u32 v13, s0, v9, s8
	v_lshrrev_b32_e32 v25, v5, v23
	s_wait_alu 0xf1ff
	v_add_co_ci_u32_e64 v14, s0, s9, v10, s0
	v_cmp_lt_i32_e64 s0, 5, v1
	v_cmp_eq_u32_e64 s1, 3, v1
	v_lshlrev_b32_e32 v5, v5, v25
	v_lshrrev_b32_e32 v20, 2, v20
	v_lshrrev_b32_e32 v1, 16, v2
	s_delay_alu instid0(VALU_DEP_4) | instskip(NEXT) | instid1(VALU_DEP_3)
	s_or_b32 s0, s1, s0
	v_cmp_ne_u32_e64 s2, v5, v23
	s_wait_alu 0xfffe
	v_add_co_ci_u32_e64 v20, s0, 0, v20, s0
	v_add_nc_u32_e32 v23, 0xfffffc10, v19
	v_mul_f16_e32 v19, v74, v1
	s_wait_alu 0xf1ff
	v_cndmask_b32_e64 v5, 0, 1, s2
	v_cmp_ne_u32_e64 s0, 0, v17
	v_mul_f64_e32 v[11:12], s[6:7], v[11:12]
	v_fmac_f16_e32 v19, v72, v2
	s_delay_alu instid0(VALU_DEP_4)
	v_or_b32_e32 v5, v25, v5
	v_lshl_or_b32 v25, v23, 12, v3
	s_wait_alu 0xf1ff
	v_cndmask_b32_e64 v17, 0, 1, s0
	v_cmp_gt_i32_e64 s0, 1, v23
	v_cvt_f32_f16_e32 v19, v19
	v_and_or_b32 v7, 0x1ff, v8, v7
	v_mul_f16_e32 v2, v74, v2
	v_lshl_or_b32 v17, v17, 9, 0x7c00
	s_wait_alu 0xf1ff
	v_cndmask_b32_e64 v5, v25, v5, s0
	v_cmp_gt_i32_e64 s0, 31, v21
	v_cmp_ne_u32_e64 s1, 0, v7
	v_fma_f16 v1, v72, v1, -v2
	s_delay_alu instid0(VALU_DEP_4)
	v_and_b32_e32 v26, 7, v5
	s_wait_alu 0xf1ff
	v_cndmask_b32_e64 v25, 0x7c00, v20, s0
	v_cvt_f64_f32_e32 v[19:20], v19
	v_cmp_eq_u32_e64 s0, 0x40f, v21
	v_cndmask_b32_e64 v7, 0, 1, s1
	v_cmp_eq_u32_e64 s1, 3, v26
	v_lshrrev_b32_e32 v5, 2, v5
	v_lshrrev_b32_e32 v21, 8, v8
	s_wait_alu 0xf1ff
	v_cndmask_b32_e64 v17, v25, v17, s0
	v_cmp_lt_i32_e64 s0, 5, v26
	v_bfe_u32 v25, v8, 20, 11
	v_cvt_f32_f16_e32 v1, v1
	v_and_or_b32 v7, 0xffe, v21, v7
	v_and_or_b32 v26, 0x8000, v18, v17
	s_or_b32 s0, s1, s0
	v_sub_nc_u32_e32 v17, 0x3f1, v25
	s_wait_alu 0xfffe
	v_add_co_ci_u32_e64 v5, s0, 0, v5, s0
	v_cmp_ne_u32_e64 s0, 0, v3
	v_or_b32_e32 v21, 0x1000, v7
	v_med3_i32 v17, v17, 0, 13
	v_and_or_b32 v2, 0x1ff, v12, v11
	s_wait_alu 0xf1ff
	v_cndmask_b32_e64 v3, 0, 1, s0
	v_cmp_gt_i32_e64 s0, 31, v23
	v_lshrrev_b32_e32 v27, v17, v21
	v_bfe_u32 v28, v12, 20, 11
	s_delay_alu instid0(VALU_DEP_4)
	v_lshl_or_b32 v3, v3, 9, 0x7c00
	s_wait_alu 0xf1ff
	v_cndmask_b32_e64 v5, 0x7c00, v5, s0
	v_cmp_eq_u32_e64 s0, 0x40f, v23
	v_lshrrev_b32_e32 v23, 8, v12
	v_lshrrev_b32_e32 v12, 16, v12
	s_wait_alu 0xf1ff
	s_delay_alu instid0(VALU_DEP_3)
	v_cndmask_b32_e64 v3, v5, v3, s0
	v_lshlrev_b32_e32 v5, v17, v27
	v_cmp_ne_u32_e64 s0, 0, v2
	v_cvt_f64_f32_e32 v[17:18], v1
	ds_load_2addr_b32 v[1:2], v62 offset0:225 offset1:252
	v_mul_f64_e32 v[19:20], s[6:7], v[19:20]
	v_and_or_b32 v3, 0x8000, v6, v3
	s_wait_alu 0xf1ff
	v_cndmask_b32_e64 v11, 0, 1, s0
	v_cmp_ne_u32_e64 s0, v5, v21
	v_add_nc_u32_e32 v21, 0xfffffc10, v25
	v_and_b32_e32 v6, 0xffff, v26
	global_store_b32 v[9:10], v22, off
	global_store_b32 v[13:14], v24, off
	v_and_or_b32 v11, 0xffe, v23, v11
	s_wait_alu 0xf1ff
	v_cndmask_b32_e64 v5, 0, 1, s0
	v_sub_nc_u32_e32 v23, 0x3f1, v28
	v_lshl_or_b32 v25, v21, 12, v7
	v_cmp_gt_i32_e64 s0, 1, v21
	v_lshl_or_b32 v3, v3, 16, v6
	v_or_b32_e32 v5, v27, v5
	v_or_b32_e32 v27, 0x1000, v11
	v_med3_i32 v23, v23, 0, 13
	v_cmp_eq_u32_e64 s2, 0x40f, v21
	s_wait_alu 0xf1ff
	v_cndmask_b32_e64 v25, v25, v5, s0
	s_wait_dscnt 0x0
	v_lshrrev_b32_e32 v22, 16, v1
	v_lshrrev_b32_e32 v26, v23, v27
	v_add_co_u32 v5, s0, v13, s4
	v_and_b32_e32 v9, 7, v25
	s_wait_alu 0xf1ff
	v_add_co_ci_u32_e64 v6, s0, s5, v14, s0
	v_lshlrev_b32_e32 v10, v23, v26
	v_mul_f16_e32 v13, v73, v22
	v_cmp_lt_i32_e64 s0, 5, v9
	v_lshrrev_b32_e32 v14, 2, v25
	v_add_nc_u32_e32 v23, 0xfffffc10, v28
	v_cmp_ne_u32_e64 s1, v10, v27
	v_fmac_f16_e32 v13, v71, v1
	v_mul_f16_e32 v1, v73, v1
	global_store_b32 v[5:6], v3, off
	v_lshl_or_b32 v25, v23, 12, v11
	s_wait_alu 0xf1ff
	v_cndmask_b32_e64 v10, 0, 1, s1
	v_cmp_eq_u32_e64 s1, 3, v9
	v_cvt_f32_f16_e32 v13, v13
	v_fma_f16 v1, v71, v22, -v1
	s_delay_alu instid0(VALU_DEP_4)
	v_or_b32_e32 v24, v26, v10
	v_mul_f64_e32 v[9:10], s[6:7], v[17:18]
	s_or_b32 s0, s1, s0
	v_and_or_b32 v17, 0x1ff, v20, v19
	s_wait_alu 0xfffe
	v_add_co_ci_u32_e64 v18, s0, 0, v14, s0
	v_cmp_gt_i32_e64 s0, 1, v23
	v_cvt_f64_f32_e32 v[13:14], v13
	v_cvt_f32_f16_e32 v1, v1
	s_wait_alu 0xf1ff
	s_delay_alu instid0(VALU_DEP_3)
	v_cndmask_b32_e64 v19, v25, v24, s0
	v_cmp_ne_u32_e64 s0, 0, v17
	v_lshrrev_b32_e32 v24, 8, v20
	v_bfe_u32 v25, v20, 20, 11
	v_lshrrev_b32_e32 v20, 16, v20
	v_and_b32_e32 v26, 7, v19
	s_wait_alu 0xf1ff
	v_cndmask_b32_e64 v17, 0, 1, s0
	v_cmp_ne_u32_e64 s0, 0, v7
	v_lshrrev_b32_e32 v19, 2, v19
	v_add_nc_u32_e32 v22, 0xfffffc10, v25
	v_cmp_eq_u32_e64 s1, 3, v26
	v_and_or_b32 v17, 0xffe, v24, v17
	v_sub_nc_u32_e32 v24, 0x3f1, v25
	s_wait_alu 0xf1ff
	v_cndmask_b32_e64 v7, 0, 1, s0
	v_cmp_gt_i32_e64 s0, 31, v21
	v_or_b32_e32 v27, 0x1000, v17
	v_med3_i32 v24, v24, 0, 13
	s_delay_alu instid0(VALU_DEP_4) | instskip(SKIP_4) | instid1(VALU_DEP_3)
	v_lshl_or_b32 v7, v7, 9, 0x7c00
	s_wait_alu 0xf1ff
	v_cndmask_b32_e64 v18, 0x7c00, v18, s0
	v_cmp_lt_i32_e64 s0, 5, v26
	v_lshrrev_b32_e32 v21, v24, v27
	v_cndmask_b32_e64 v18, v18, v7, s2
	s_delay_alu instid0(VALU_DEP_3)
	s_or_b32 s0, s1, s0
	s_wait_alu 0xfffe
	v_add_co_ci_u32_e64 v7, s0, 0, v19, s0
	v_lshrrev_b32_e32 v19, 16, v8
	v_lshlrev_b32_e32 v8, v24, v21
	v_cmp_gt_i32_e64 s0, 31, v23
	v_lshrrev_b32_e32 v26, 8, v10
	s_delay_alu instid0(VALU_DEP_4) | instskip(SKIP_1) | instid1(VALU_DEP_3)
	v_and_or_b32 v18, 0x8000, v19, v18
	s_wait_alu 0xf1ff
	v_cndmask_b32_e64 v24, 0x7c00, v7, s0
	v_and_or_b32 v7, 0x1ff, v10, v9
	v_cmp_ne_u32_e64 s0, v8, v27
	v_bfe_u32 v27, v10, 20, 11
	v_and_b32_e32 v18, 0xffff, v18
	s_wait_alu 0xf1ff
	s_delay_alu instid0(VALU_DEP_3) | instskip(SKIP_3) | instid1(VALU_DEP_4)
	v_cndmask_b32_e64 v9, 0, 1, s0
	v_cmp_ne_u32_e64 s0, 0, v7
	v_mul_f64_e32 v[7:8], s[6:7], v[13:14]
	v_cvt_f64_f32_e32 v[13:14], v1
	v_or_b32_e32 v9, v21, v9
	s_wait_alu 0xf1ff
	v_cndmask_b32_e64 v25, 0, 1, s0
	v_cmp_ne_u32_e64 s0, 0, v11
	v_sub_nc_u32_e32 v11, 0x3f1, v27
	v_lshl_or_b32 v21, v22, 12, v17
	s_delay_alu instid0(VALU_DEP_4)
	v_and_or_b32 v25, 0xffe, v26, v25
	s_wait_alu 0xf1ff
	v_cndmask_b32_e64 v1, 0, 1, s0
	v_cmp_gt_i32_e64 s0, 1, v22
	v_med3_i32 v11, v11, 0, 13
	v_or_b32_e32 v26, 0x1000, v25
	s_delay_alu instid0(VALU_DEP_4) | instskip(SKIP_4) | instid1(VALU_DEP_3)
	v_lshl_or_b32 v1, v1, 9, 0x7c00
	s_wait_alu 0xf1ff
	v_cndmask_b32_e64 v9, v21, v9, s0
	v_cmp_eq_u32_e64 s0, 0x40f, v23
	v_lshrrev_b32_e32 v21, v11, v26
	v_and_b32_e32 v19, 7, v9
	s_wait_alu 0xf1ff
	s_delay_alu instid0(VALU_DEP_3)
	v_cndmask_b32_e64 v1, v24, v1, s0
	v_lshrrev_b32_e32 v9, 2, v9
	v_lshlrev_b32_e32 v3, v11, v21
	v_cmp_lt_i32_e64 s0, 5, v19
	v_cmp_eq_u32_e64 s1, 3, v19
	v_add_nc_u32_e32 v19, 0xfffffc10, v27
	s_delay_alu instid0(VALU_DEP_4) | instskip(SKIP_1) | instid1(VALU_DEP_4)
	v_cmp_ne_u32_e64 s2, v3, v26
	v_and_or_b32 v1, 0x8000, v12, v1
	s_or_b32 s0, s1, s0
	s_delay_alu instid0(VALU_DEP_3)
	v_lshl_or_b32 v11, v19, 12, v25
	s_wait_alu 0xfffe
	v_add_co_ci_u32_e64 v9, s0, 0, v9, s0
	v_cndmask_b32_e64 v3, 0, 1, s2
	v_cmp_ne_u32_e64 s0, 0, v17
	v_and_or_b32 v7, 0x1ff, v8, v7
	v_lshrrev_b32_e32 v23, 8, v8
	v_bfe_u32 v24, v8, 20, 11
	v_or_b32_e32 v3, v21, v3
	s_wait_alu 0xf1ff
	v_cndmask_b32_e64 v17, 0, 1, s0
	v_cmp_gt_i32_e64 s0, 1, v19
	v_lshrrev_b32_e32 v21, 16, v4
	v_cmp_eq_u32_e64 s2, 0x40f, v22
	v_lshrrev_b32_e32 v8, 16, v8
	v_lshl_or_b32 v17, v17, 9, 0x7c00
	s_wait_alu 0xf1ff
	v_cndmask_b32_e64 v3, v11, v3, s0
	v_mul_f64_e32 v[11:12], s[6:7], v[13:14]
	v_mul_f16_e32 v13, v70, v21
	v_cmp_gt_i32_e64 s0, 31, v22
	s_delay_alu instid0(VALU_DEP_4) | instskip(SKIP_1) | instid1(VALU_DEP_4)
	v_and_b32_e32 v14, 7, v3
	v_lshrrev_b32_e32 v3, 2, v3
	v_fmac_f16_e32 v13, v69, v4
	s_wait_alu 0xf1ff
	v_cndmask_b32_e64 v9, 0x7c00, v9, s0
	v_cmp_ne_u32_e64 s0, 0, v7
	v_cmp_eq_u32_e64 s1, 3, v14
	v_mul_f16_e32 v4, v70, v4
	v_cvt_f32_f16_e32 v13, v13
	v_cndmask_b32_e64 v9, v9, v17, s2
	s_wait_alu 0xf1ff
	v_cndmask_b32_e64 v7, 0, 1, s0
	v_cmp_lt_i32_e64 s0, 5, v14
	v_cvt_f64_f32_e32 v[13:14], v13
	v_and_or_b32 v20, 0x8000, v20, v9
	s_delay_alu instid0(VALU_DEP_4) | instskip(NEXT) | instid1(VALU_DEP_4)
	v_and_or_b32 v7, 0xffe, v23, v7
	s_or_b32 s0, s1, s0
	v_sub_nc_u32_e32 v23, 0x3f1, v24
	s_wait_alu 0xfffe
	v_add_co_ci_u32_e64 v3, s0, 0, v3, s0
	v_cmp_ne_u32_e64 s0, 0, v25
	v_or_b32_e32 v17, 0x1000, v7
	v_med3_i32 v22, v23, 0, 13
	s_wait_alu 0xf1ff
	s_delay_alu instid0(VALU_DEP_3) | instskip(SKIP_1) | instid1(VALU_DEP_3)
	v_cndmask_b32_e64 v23, 0, 1, s0
	v_cmp_gt_i32_e64 s0, 31, v19
	v_lshrrev_b32_e32 v25, v22, v17
	s_delay_alu instid0(VALU_DEP_3) | instskip(SKIP_1) | instid1(VALU_DEP_3)
	v_lshl_or_b32 v23, v23, 9, 0x7c00
	s_wait_alu 0xf1ff
	v_cndmask_b32_e64 v3, 0x7c00, v3, s0
	v_cmp_eq_u32_e64 s0, 0x40f, v19
	v_lshlrev_b32_e32 v9, v22, v25
	v_bfe_u32 v22, v12, 20, 11
	s_wait_alu 0xf1ff
	s_delay_alu instid0(VALU_DEP_3)
	v_cndmask_b32_e64 v19, v3, v23, s0
	v_fma_f16 v3, v69, v21, -v4
	v_and_or_b32 v4, 0x1ff, v12, v11
	v_cmp_ne_u32_e64 s0, v9, v17
	v_add_nc_u32_e32 v11, 0xfffffc10, v24
	v_lshrrev_b32_e32 v21, 8, v12
	v_cvt_f32_f16_e32 v3, v3
	v_lshrrev_b32_e32 v24, 16, v10
	s_wait_alu 0xf1ff
	v_cndmask_b32_e64 v9, 0, 1, s0
	v_cmp_ne_u32_e64 s0, 0, v4
	v_lshl_or_b32 v23, v11, 12, v7
	v_cvt_f64_f32_e32 v[3:4], v3
	v_lshrrev_b32_e32 v12, 16, v12
	v_or_b32_e32 v9, v25, v9
	s_wait_alu 0xf1ff
	v_cndmask_b32_e64 v17, 0, 1, s0
	v_cmp_gt_i32_e64 s0, 1, v11
	v_lshl_or_b32 v25, v1, 16, v18
	v_and_or_b32 v1, 0x8000, v24, v19
	v_lshrrev_b32_e32 v24, 16, v0
	v_and_or_b32 v21, 0xffe, v21, v17
	v_sub_nc_u32_e32 v17, 0x3f1, v22
	s_wait_alu 0xf1ff
	v_cndmask_b32_e64 v23, v23, v9, s0
	v_mul_f64_e32 v[9:10], s[6:7], v[13:14]
	v_add_co_u32 v5, s0, v5, s4
	v_or_b32_e32 v13, 0x1000, v21
	v_med3_i32 v14, v17, 0, 13
	v_and_b32_e32 v17, 0xffff, v20
	v_and_b32_e32 v18, 7, v23
	s_wait_alu 0xf1ff
	v_add_co_ci_u32_e64 v6, s0, s5, v6, s0
	v_lshrrev_b32_e32 v19, v14, v13
	v_lshl_or_b32 v20, v1, 16, v17
	v_cmp_lt_i32_e64 s0, 5, v18
	v_cmp_eq_u32_e64 s1, 3, v18
	v_add_nc_u32_e32 v22, 0xfffffc10, v22
	v_lshlrev_b32_e32 v1, v14, v19
	v_lshrrev_b32_e32 v14, 2, v23
	s_delay_alu instid0(VALU_DEP_4) | instskip(NEXT) | instid1(VALU_DEP_3)
	s_or_b32 s0, s1, s0
	v_lshl_or_b32 v17, v22, 12, v21
	s_delay_alu instid0(VALU_DEP_3)
	v_cmp_ne_u32_e64 s2, v1, v13
	s_wait_alu 0xfffe
	v_add_co_ci_u32_e64 v14, s0, 0, v14, s0
	v_mul_f16_e32 v13, v68, v24
	v_cmp_ne_u32_e64 s0, 0, v7
	s_wait_alu 0xf1ff
	v_cndmask_b32_e64 v1, 0, 1, s2
	s_delay_alu instid0(VALU_DEP_3) | instskip(NEXT) | instid1(VALU_DEP_3)
	v_fmac_f16_e32 v13, v67, v0
	v_cndmask_b32_e64 v7, 0, 1, s0
	s_delay_alu instid0(VALU_DEP_3)
	v_or_b32_e32 v1, v19, v1
	v_mul_f64_e32 v[3:4], s[6:7], v[3:4]
	v_cmp_gt_i32_e64 s0, 1, v22
	v_cvt_f32_f16_e32 v13, v13
	v_lshl_or_b32 v7, v7, 9, 0x7c00
	s_wait_alu 0xf1ff
	s_delay_alu instid0(VALU_DEP_3) | instskip(SKIP_2) | instid1(VALU_DEP_3)
	v_cndmask_b32_e64 v1, v17, v1, s0
	v_cmp_gt_i32_e64 s0, 31, v11
	v_and_or_b32 v9, 0x1ff, v10, v9
	v_and_b32_e32 v23, 7, v1
	s_wait_alu 0xf1ff
	s_delay_alu instid0(VALU_DEP_3)
	v_cndmask_b32_e64 v19, 0x7c00, v14, s0
	v_cvt_f64_f32_e32 v[13:14], v13
	v_add_co_u32 v17, s0, v5, s8
	s_wait_alu 0xf1ff
	v_add_co_ci_u32_e64 v18, s0, s9, v6, s0
	v_cmp_eq_u32_e64 s0, 0x40f, v11
	v_cmp_ne_u32_e64 s1, 0, v9
	v_lshrrev_b32_e32 v1, 2, v1
	v_lshrrev_b32_e32 v11, 8, v10
	global_store_b32 v[5:6], v25, off
	global_store_b32 v[17:18], v20, off
	s_wait_alu 0xf1ff
	v_cndmask_b32_e64 v7, v19, v7, s0
	v_cmp_lt_i32_e64 s0, 5, v23
	v_cndmask_b32_e64 v9, 0, 1, s1
	v_cmp_eq_u32_e64 s1, 3, v23
	v_bfe_u32 v19, v10, 20, 11
	v_and_or_b32 v26, 0x8000, v8, v7
	v_lshrrev_b32_e32 v10, 16, v10
	v_and_or_b32 v9, 0xffe, v11, v9
	s_or_b32 s0, s1, s0
	v_sub_nc_u32_e32 v11, 0x3f1, v19
	s_wait_alu 0xfffe
	v_add_co_ci_u32_e64 v1, s0, 0, v1, s0
	v_cmp_ne_u32_e64 s0, 0, v21
	v_or_b32_e32 v23, 0x1000, v9
	v_med3_i32 v11, v11, 0, 13
	v_and_or_b32 v3, 0x1ff, v4, v3
	v_bfe_u32 v27, v4, 20, 11
	s_wait_alu 0xf1ff
	v_cndmask_b32_e64 v21, 0, 1, s0
	v_cmp_gt_i32_e64 s0, 31, v22
	v_lshrrev_b32_e32 v7, v11, v23
	s_delay_alu instid0(VALU_DEP_3) | instskip(SKIP_1) | instid1(VALU_DEP_3)
	v_lshl_or_b32 v21, v21, 9, 0x7c00
	s_wait_alu 0xf1ff
	v_cndmask_b32_e64 v1, 0x7c00, v1, s0
	v_cmp_eq_u32_e64 s0, 0x40f, v22
	v_lshlrev_b32_e32 v8, v11, v7
	v_mul_f16_e32 v11, v68, v0
	v_lshrrev_b32_e32 v22, 8, v4
	v_lshrrev_b32_e32 v4, 16, v4
	s_wait_alu 0xf1ff
	v_cndmask_b32_e64 v21, v1, v21, s0
	v_cmp_ne_u32_e64 s0, 0, v3
	v_mul_f64_e32 v[0:1], s[6:7], v[13:14]
	v_fma_f16 v11, v67, v24, -v11
	v_sub_nc_u32_e32 v14, 0x3f1, v27
	v_add_nc_u32_e32 v13, 0xfffffc10, v19
	s_wait_alu 0xf1ff
	v_cndmask_b32_e64 v3, 0, 1, s0
	v_cmp_ne_u32_e64 s0, v8, v23
	v_cvt_f32_f16_e32 v11, v11
	v_med3_i32 v14, v14, 0, 13
	v_cmp_eq_u32_e64 s2, 0x40f, v13
	v_and_or_b32 v3, 0xffe, v22, v3
	s_wait_alu 0xf1ff
	v_cndmask_b32_e64 v8, 0, 1, s0
	v_lshl_or_b32 v22, v13, 12, v9
	v_cmp_gt_i32_e64 s0, 1, v13
	v_or_b32_e32 v23, 0x1000, v3
	s_delay_alu instid0(VALU_DEP_4)
	v_or_b32_e32 v19, v7, v8
	v_cvt_f64_f32_e32 v[7:8], v11
	v_and_or_b32 v11, 0x8000, v12, v21
	v_and_b32_e32 v12, 0xffff, v26
	v_lshrrev_b32_e32 v21, v14, v23
	s_wait_alu 0xf1ff
	v_cndmask_b32_e64 v19, v22, v19, s0
	v_add_co_u32 v5, s0, v17, s4
	v_lshl_or_b32 v20, v11, 16, v12
	v_lshlrev_b32_e32 v12, v14, v21
	s_delay_alu instid0(VALU_DEP_4)
	v_and_b32_e32 v11, 7, v19
	v_lshrrev_b32_e32 v14, 16, v2
	s_wait_alu 0xf1ff
	v_add_co_ci_u32_e64 v6, s0, s5, v18, s0
	v_cmp_ne_u32_e64 s1, v12, v23
	v_cmp_lt_i32_e64 s0, 5, v11
	v_add_nc_u32_e32 v17, 0xfffffc10, v27
	v_mul_f16_e32 v18, v66, v14
	s_wait_alu 0xf1ff
	v_cndmask_b32_e64 v12, 0, 1, s1
	v_cmp_eq_u32_e64 s1, 3, v11
	v_lshrrev_b32_e32 v11, 2, v19
	v_lshl_or_b32 v19, v17, 12, v3
	v_fmac_f16_e32 v18, v64, v2
	v_or_b32_e32 v12, v21, v12
	s_or_b32 s0, s1, s0
	v_and_or_b32 v0, 0x1ff, v1, v0
	s_wait_alu 0xfffe
	v_add_co_ci_u32_e64 v21, s0, 0, v11, s0
	v_cmp_gt_i32_e64 s0, 1, v17
	v_cvt_f32_f16_e32 v11, v18
	v_bfe_u32 v22, v1, 20, 11
	s_wait_alu 0xf1ff
	s_delay_alu instid0(VALU_DEP_3)
	v_cndmask_b32_e64 v18, v19, v12, s0
	v_cmp_ne_u32_e64 s0, 0, v0
	v_lshrrev_b32_e32 v19, 8, v1
	v_cvt_f64_f32_e32 v[11:12], v11
	v_lshrrev_b32_e32 v1, 16, v1
	v_mul_f64_e32 v[7:8], s[6:7], v[7:8]
	s_wait_alu 0xf1ff
	v_cndmask_b32_e64 v0, 0, 1, s0
	v_cmp_ne_u32_e64 s0, 0, v9
	v_and_b32_e32 v23, 7, v18
	v_lshrrev_b32_e32 v18, 2, v18
	s_delay_alu instid0(VALU_DEP_4)
	v_and_or_b32 v0, 0xffe, v19, v0
	s_wait_alu 0xf1ff
	v_cndmask_b32_e64 v9, 0, 1, s0
	v_cmp_gt_i32_e64 s0, 31, v13
	v_sub_nc_u32_e32 v19, 0x3f1, v22
	v_cmp_eq_u32_e64 s1, 3, v23
	v_or_b32_e32 v24, 0x1000, v0
	v_lshl_or_b32 v9, v9, 9, 0x7c00
	s_wait_alu 0xf1ff
	v_cndmask_b32_e64 v21, 0x7c00, v21, s0
	v_cmp_lt_i32_e64 s0, 5, v23
	v_med3_i32 v19, v19, 0, 13
	s_delay_alu instid0(VALU_DEP_3) | instskip(NEXT) | instid1(VALU_DEP_3)
	v_cndmask_b32_e64 v9, v21, v9, s2
	s_or_b32 s0, s1, s0
	s_delay_alu instid0(VALU_DEP_2)
	v_lshrrev_b32_e32 v13, v19, v24
	s_wait_alu 0xfffe
	v_add_co_ci_u32_e64 v18, s0, 0, v18, s0
	v_cmp_ne_u32_e64 s0, 0, v3
	v_and_or_b32 v21, 0x8000, v10, v9
	v_lshlrev_b32_e32 v19, v19, v13
	s_wait_alu 0xf1ff
	s_delay_alu instid0(VALU_DEP_3) | instskip(SKIP_2) | instid1(VALU_DEP_3)
	v_cndmask_b32_e64 v3, 0, 1, s0
	v_cmp_gt_i32_e64 s0, 31, v17
	v_and_b32_e32 v21, 0xffff, v21
	v_lshl_or_b32 v3, v3, 9, 0x7c00
	s_wait_alu 0xf1ff
	s_delay_alu instid0(VALU_DEP_3) | instskip(SKIP_3) | instid1(VALU_DEP_2)
	v_cndmask_b32_e64 v18, 0x7c00, v18, s0
	v_cmp_ne_u32_e64 s0, v19, v24
	v_and_or_b32 v7, 0x1ff, v8, v7
	s_wait_alu 0xf1ff
	v_cndmask_b32_e64 v9, 0, 1, s0
	v_cmp_eq_u32_e64 s0, 0x40f, v17
	v_add_nc_u32_e32 v17, 0xfffffc10, v22
	s_delay_alu instid0(VALU_DEP_3) | instskip(SKIP_1) | instid1(VALU_DEP_3)
	v_or_b32_e32 v9, v13, v9
	s_wait_alu 0xf1ff
	v_cndmask_b32_e64 v10, v18, v3, s0
	ds_load_b32 v18, v62 offset:1584
	v_mul_f16_e32 v13, v66, v2
	v_mul_f64_e32 v[2:3], s[6:7], v[11:12]
	v_lshl_or_b32 v11, v17, 12, v0
	v_cmp_gt_i32_e64 s0, 1, v17
	v_and_or_b32 v4, 0x8000, v4, v10
	v_fma_f16 v12, v64, v14, -v13
	v_bfe_u32 v13, v8, 20, 11
	s_wait_alu 0xf1ff
	v_cndmask_b32_e64 v11, v11, v9, s0
	v_cmp_ne_u32_e64 s0, 0, v7
	v_cvt_f32_f16_e32 v9, v12
	v_lshrrev_b32_e32 v12, 8, v8
	v_lshl_or_b32 v4, v4, 16, v21
	v_and_b32_e32 v14, 7, v11
	s_wait_alu 0xf1ff
	v_cndmask_b32_e64 v7, 0, 1, s0
	v_cvt_f64_f32_e32 v[9:10], v9
	v_lshrrev_b32_e32 v11, 2, v11
	v_cmp_lt_i32_e64 s0, 5, v14
	s_delay_alu instid0(VALU_DEP_4)
	v_and_or_b32 v7, 0xffe, v12, v7
	v_sub_nc_u32_e32 v12, 0x3f1, v13
	s_wait_dscnt 0x0
	v_lshrrev_b32_e32 v19, 16, v18
	v_cmp_eq_u32_e64 s1, 3, v14
	v_or_b32_e32 v22, 0x1000, v7
	v_med3_i32 v12, v12, 0, 13
	s_delay_alu instid0(VALU_DEP_4) | instskip(NEXT) | instid1(VALU_DEP_4)
	v_mul_f16_e32 v23, v65, v19
	s_or_b32 s0, s1, s0
	s_wait_alu 0xfffe
	v_add_co_ci_u32_e64 v11, s0, 0, v11, s0
	v_lshrrev_b32_e32 v14, v12, v22
	v_fmac_f16_e32 v23, v63, v18
	v_cmp_ne_u32_e64 s0, 0, v0
	s_delay_alu instid0(VALU_DEP_3) | instskip(NEXT) | instid1(VALU_DEP_3)
	v_lshlrev_b32_e32 v21, v12, v14
	v_cvt_f32_f16_e32 v12, v23
	s_wait_alu 0xf1ff
	s_delay_alu instid0(VALU_DEP_3) | instskip(SKIP_2) | instid1(VALU_DEP_3)
	v_cndmask_b32_e64 v0, 0, 1, s0
	v_cmp_gt_i32_e64 s0, 31, v17
	v_and_or_b32 v2, 0x1ff, v3, v2
	v_lshl_or_b32 v0, v0, 9, 0x7c00
	s_wait_alu 0xf1ff
	s_delay_alu instid0(VALU_DEP_3)
	v_cndmask_b32_e64 v23, 0x7c00, v11, s0
	v_cvt_f64_f32_e32 v[11:12], v12
	v_cmp_ne_u32_e64 s0, v21, v22
	v_add_nc_u32_e32 v22, 0xfffffc10, v13
	v_mul_f16_e32 v13, v65, v18
	v_lshrrev_b32_e32 v18, 8, v3
	s_wait_alu 0xf1ff
	v_cndmask_b32_e64 v21, 0, 1, s0
	v_cmp_ne_u32_e64 s0, 0, v2
	v_fma_f16 v13, v63, v19, -v13
	v_lshl_or_b32 v19, v22, 12, v7
	v_mul_f64_e32 v[9:10], s[6:7], v[9:10]
	v_or_b32_e32 v14, v14, v21
	s_wait_alu 0xf1ff
	v_cndmask_b32_e64 v2, 0, 1, s0
	v_bfe_u32 v21, v3, 20, 11
	v_cmp_gt_i32_e64 s0, 1, v22
	v_cvt_f32_f16_e32 v13, v13
	v_lshrrev_b32_e32 v3, 16, v3
	v_and_or_b32 v2, 0xffe, v18, v2
	v_sub_nc_u32_e32 v18, 0x3f1, v21
	s_wait_alu 0xf1ff
	v_cndmask_b32_e64 v19, v19, v14, s0
	v_cmp_eq_u32_e64 s0, 0x40f, v17
	v_cvt_f64_f32_e32 v[13:14], v13
	v_or_b32_e32 v24, 0x1000, v2
	v_med3_i32 v25, v18, 0, 13
	v_add_nc_u32_e32 v21, 0xfffffc10, v21
	s_wait_alu 0xf1ff
	v_cndmask_b32_e64 v0, v23, v0, s0
	v_and_b32_e32 v23, 7, v19
	v_add_co_u32 v17, s0, v5, s4
	v_lshrrev_b32_e32 v26, v25, v24
	s_wait_alu 0xf1ff
	v_add_co_ci_u32_e64 v18, s0, s5, v6, s0
	v_cmp_lt_i32_e64 s0, 5, v23
	v_cmp_eq_u32_e64 s1, 3, v23
	v_lshrrev_b32_e32 v19, 2, v19
	v_lshlrev_b32_e32 v25, v25, v26
	v_and_or_b32 v27, 0x8000, v1, v0
	s_delay_alu instid0(VALU_DEP_4)
	s_or_b32 s0, s1, s0
	v_mul_f64_e32 v[0:1], s[6:7], v[11:12]
	s_wait_alu 0xfffe
	v_add_co_ci_u32_e64 v11, s0, 0, v19, s0
	v_cmp_ne_u32_e64 s2, v25, v24
	v_cmp_ne_u32_e64 s0, 0, v7
	v_lshl_or_b32 v19, v21, 12, v2
	s_wait_alu 0xf1ff
	s_delay_alu instid0(VALU_DEP_3) | instskip(NEXT) | instid1(VALU_DEP_3)
	v_cndmask_b32_e64 v23, 0, 1, s2
	v_cndmask_b32_e64 v7, 0, 1, s0
	v_cmp_gt_i32_e64 s0, 31, v22
	v_and_or_b32 v9, 0x1ff, v10, v9
	s_delay_alu instid0(VALU_DEP_4) | instskip(NEXT) | instid1(VALU_DEP_4)
	v_or_b32_e32 v12, v26, v23
	v_lshl_or_b32 v7, v7, 9, 0x7c00
	s_wait_alu 0xf1ff
	v_cndmask_b32_e64 v11, 0x7c00, v11, s0
	v_cmp_gt_i32_e64 s0, 1, v21
	v_lshrrev_b32_e32 v23, 8, v10
	s_wait_alu 0xf1ff
	s_delay_alu instid0(VALU_DEP_2) | instskip(SKIP_2) | instid1(VALU_DEP_3)
	v_cndmask_b32_e64 v12, v19, v12, s0
	v_cmp_eq_u32_e64 s0, 0x40f, v22
	v_lshrrev_b32_e32 v19, 16, v8
	v_and_b32_e32 v22, 7, v12
	s_wait_alu 0xf1ff
	s_delay_alu instid0(VALU_DEP_3)
	v_cndmask_b32_e64 v11, v11, v7, s0
	v_cmp_ne_u32_e64 s0, 0, v9
	v_mul_f64_e32 v[7:8], s[6:7], v[13:14]
	v_bfe_u32 v13, v10, 20, 11
	v_cmp_eq_u32_e64 s1, 3, v22
	v_lshrrev_b32_e32 v12, 2, v12
	s_wait_alu 0xf1ff
	v_cndmask_b32_e64 v9, 0, 1, s0
	v_cmp_lt_i32_e64 s0, 5, v22
	v_and_or_b32 v11, 0x8000, v19, v11
	v_and_b32_e32 v14, 0xffff, v27
	v_sub_nc_u32_e32 v19, 0x3f1, v13
	v_and_or_b32 v9, 0xffe, v23, v9
	s_or_b32 s0, s1, s0
	v_and_or_b32 v0, 0x1ff, v1, v0
	s_wait_alu 0xfffe
	v_add_co_ci_u32_e64 v12, s0, 0, v12, s0
	v_lshl_or_b32 v11, v11, 16, v14
	v_or_b32_e32 v14, 0x1000, v9
	v_med3_i32 v19, v19, 0, 13
	v_cmp_ne_u32_e64 s0, 0, v2
	v_lshrrev_b32_e32 v23, 8, v1
	v_bfe_u32 v24, v1, 20, 11
	v_add_nc_u32_e32 v13, 0xfffffc10, v13
	v_lshrrev_b32_e32 v22, v19, v14
	s_wait_alu 0xf1ff
	v_cndmask_b32_e64 v2, 0, 1, s0
	v_cmp_gt_i32_e64 s0, 31, v21
	v_lshrrev_b32_e32 v10, 16, v10
	v_lshrrev_b32_e32 v1, 16, v1
	v_lshlrev_b32_e32 v19, v19, v22
	v_lshl_or_b32 v2, v2, 9, 0x7c00
	s_wait_alu 0xf1ff
	v_cndmask_b32_e64 v12, 0x7c00, v12, s0
	v_cmp_ne_u32_e64 s0, 0, v0
	s_wait_alu 0xf1ff
	s_delay_alu instid0(VALU_DEP_1) | instskip(SKIP_3) | instid1(VALU_DEP_4)
	v_cndmask_b32_e64 v0, 0, 1, s0
	v_cmp_ne_u32_e64 s0, v19, v14
	v_sub_nc_u32_e32 v19, 0x3f1, v24
	v_and_or_b32 v7, 0x1ff, v8, v7
	v_and_or_b32 v0, 0xffe, v23, v0
	s_wait_alu 0xf1ff
	v_cndmask_b32_e64 v14, 0, 1, s0
	v_cmp_eq_u32_e64 s0, 0x40f, v21
	v_med3_i32 v19, v19, 0, 13
	v_bfe_u32 v23, v8, 20, 11
	v_or_b32_e32 v21, 0x1000, v0
	s_wait_alu 0xf1ff
	v_cndmask_b32_e64 v2, v12, v2, s0
	v_or_b32_e32 v12, v22, v14
	v_lshl_or_b32 v14, v13, 12, v9
	v_cmp_gt_i32_e64 s0, 1, v13
	v_lshrrev_b32_e32 v22, 8, v8
	v_and_or_b32 v2, 0x8000, v3, v2
	s_wait_alu 0xf1ff
	s_delay_alu instid0(VALU_DEP_3) | instskip(SKIP_2) | instid1(VALU_DEP_3)
	v_cndmask_b32_e64 v12, v14, v12, s0
	v_lshrrev_b32_e32 v14, v19, v21
	v_cmp_ne_u32_e64 s0, 0, v7
	v_and_b32_e32 v25, 7, v12
	s_delay_alu instid0(VALU_DEP_3) | instskip(SKIP_1) | instid1(VALU_DEP_3)
	v_lshlrev_b32_e32 v19, v19, v14
	s_wait_alu 0xf1ff
	v_cndmask_b32_e64 v7, 0, 1, s0
	v_lshrrev_b32_e32 v12, 2, v12
	v_cmp_lt_i32_e64 s0, 5, v25
	v_cmp_ne_u32_e64 s1, v19, v21
	s_delay_alu instid0(VALU_DEP_4)
	v_and_or_b32 v3, 0xffe, v22, v7
	v_sub_nc_u32_e32 v7, 0x3f1, v23
	v_add_nc_u32_e32 v22, 0xfffffc10, v24
	s_wait_alu 0xf1ff
	v_cndmask_b32_e64 v19, 0, 1, s1
	v_cmp_eq_u32_e64 s1, 3, v25
	v_or_b32_e32 v21, 0x1000, v3
	v_med3_i32 v7, v7, 0, 13
	v_lshl_or_b32 v24, v22, 12, v0
	v_or_b32_e32 v14, v14, v19
	s_or_b32 s0, s1, s0
	s_wait_alu 0xfffe
	v_add_co_ci_u32_e64 v12, s0, 0, v12, s0
	v_lshrrev_b32_e32 v19, v7, v21
	v_cmp_gt_i32_e64 s0, 1, v22
	s_delay_alu instid0(VALU_DEP_2) | instskip(SKIP_1) | instid1(VALU_DEP_2)
	v_lshlrev_b32_e32 v7, v7, v19
	s_wait_alu 0xf1ff
	v_cndmask_b32_e64 v14, v24, v14, s0
	v_cmp_ne_u32_e64 s0, 0, v9
	s_wait_alu 0xf1ff
	s_delay_alu instid0(VALU_DEP_1) | instskip(SKIP_3) | instid1(VALU_DEP_4)
	v_cndmask_b32_e64 v9, 0, 1, s0
	v_cmp_ne_u32_e64 s0, v7, v21
	v_add_nc_u32_e32 v21, 0xfffffc10, v23
	v_and_b32_e32 v23, 7, v14
	v_lshl_or_b32 v9, v9, 9, 0x7c00
	s_wait_alu 0xf1ff
	v_cndmask_b32_e64 v7, 0, 1, s0
	v_cmp_gt_i32_e64 s0, 31, v13
	v_cmp_gt_i32_e64 s2, 1, v21
	v_cmp_eq_u32_e64 s1, 3, v23
	s_delay_alu instid0(VALU_DEP_4) | instskip(SKIP_4) | instid1(VALU_DEP_3)
	v_or_b32_e32 v7, v19, v7
	v_lshl_or_b32 v19, v21, 12, v3
	s_wait_alu 0xf1ff
	v_cndmask_b32_e64 v12, 0x7c00, v12, s0
	v_cmp_lt_i32_e64 s0, 5, v23
	v_cndmask_b32_e64 v7, v19, v7, s2
	v_cmp_eq_u32_e64 s2, 0x40f, v13
	s_delay_alu instid0(VALU_DEP_3) | instskip(NEXT) | instid1(VALU_DEP_2)
	s_or_b32 s0, s1, s0
	v_and_b32_e32 v13, 7, v7
	s_delay_alu instid0(VALU_DEP_2)
	v_cndmask_b32_e64 v9, v12, v9, s2
	v_lshrrev_b32_e32 v12, 2, v14
	v_lshrrev_b32_e32 v7, 2, v7
	v_cmp_gt_i32_e64 s2, 31, v22
	v_cmp_eq_u32_e64 s1, 3, v13
	v_and_or_b32 v9, 0x8000, v10, v9
	s_wait_alu 0xfffe
	v_add_co_ci_u32_e64 v12, s0, 0, v12, s0
	v_cmp_ne_u32_e64 s0, 0, v0
	v_and_b32_e32 v10, 0xffff, v2
	s_wait_alu 0xf1ff
	s_delay_alu instid0(VALU_DEP_3) | instskip(NEXT) | instid1(VALU_DEP_3)
	v_cndmask_b32_e64 v12, 0x7c00, v12, s2
	v_cndmask_b32_e64 v0, 0, 1, s0
	v_cmp_lt_i32_e64 s0, 5, v13
	v_lshl_or_b32 v9, v9, 16, v10
	s_delay_alu instid0(VALU_DEP_3) | instskip(NEXT) | instid1(VALU_DEP_3)
	v_lshl_or_b32 v0, v0, 9, 0x7c00
	s_or_b32 s0, s1, s0
	s_wait_alu 0xfffe
	v_add_co_ci_u32_e64 v7, s0, 0, v7, s0
	v_cmp_ne_u32_e64 s0, 0, v3
	s_wait_alu 0xf1ff
	s_delay_alu instid0(VALU_DEP_1) | instskip(SKIP_1) | instid1(VALU_DEP_2)
	v_cndmask_b32_e64 v3, 0, 1, s0
	v_cmp_eq_u32_e64 s0, 0x40f, v22
	v_lshl_or_b32 v3, v3, 9, 0x7c00
	s_wait_alu 0xf1ff
	s_delay_alu instid0(VALU_DEP_2) | instskip(SKIP_1) | instid1(VALU_DEP_2)
	v_cndmask_b32_e64 v0, v12, v0, s0
	v_cmp_gt_i32_e64 s0, 31, v21
	v_and_or_b32 v0, 0x8000, v1, v0
	s_wait_alu 0xf1ff
	s_delay_alu instid0(VALU_DEP_2) | instskip(SKIP_1) | instid1(VALU_DEP_3)
	v_cndmask_b32_e64 v7, 0x7c00, v7, s0
	v_cmp_eq_u32_e64 s0, 0x40f, v21
	v_and_b32_e32 v0, 0xffff, v0
	s_wait_alu 0xf1ff
	s_delay_alu instid0(VALU_DEP_2) | instskip(SKIP_4) | instid1(VALU_DEP_3)
	v_cndmask_b32_e64 v1, v7, v3, s0
	v_lshrrev_b32_e32 v7, 16, v8
	v_add_co_u32 v2, s0, v17, s8
	s_wait_alu 0xf1ff
	v_add_co_ci_u32_e64 v3, s0, s9, v18, s0
	v_and_or_b32 v1, 0x8000, v7, v1
	s_delay_alu instid0(VALU_DEP_3) | instskip(SKIP_1) | instid1(VALU_DEP_3)
	v_add_co_u32 v7, s0, v2, s4
	s_wait_alu 0xf1ff
	v_add_co_ci_u32_e64 v8, s0, s5, v3, s0
	s_delay_alu instid0(VALU_DEP_3) | instskip(NEXT) | instid1(VALU_DEP_3)
	v_lshl_or_b32 v10, v1, 16, v0
	v_add_co_u32 v0, s0, v7, s4
	s_wait_alu 0xf1ff
	s_delay_alu instid0(VALU_DEP_3)
	v_add_co_ci_u32_e64 v1, s0, s5, v8, s0
	global_store_b32 v[5:6], v20, off
	global_store_b32 v[17:18], v4, off
	global_store_b32 v[2:3], v11, off
	global_store_b32 v[7:8], v9, off
	global_store_b32 v[0:1], v10, off
	s_and_b32 exec_lo, exec_lo, vcc_lo
	s_cbranch_execz .LBB0_31
; %bb.30:
	global_load_b32 v4, v[15:16], off offset:540
	v_add_nc_u32_e32 v2, 0x200, v62
	ds_load_2addr_b32 v[2:3], v2 offset0:7 offset1:151
	s_wait_dscnt 0x0
	v_lshrrev_b32_e32 v5, 16, v2
	s_wait_loadcnt 0x0
	v_lshrrev_b32_e32 v6, 16, v4
	s_delay_alu instid0(VALU_DEP_1) | instskip(SKIP_1) | instid1(VALU_DEP_2)
	v_mul_f16_e32 v7, v5, v6
	v_mul_f16_e32 v6, v2, v6
	v_fmac_f16_e32 v7, v2, v4
	s_delay_alu instid0(VALU_DEP_2) | instskip(NEXT) | instid1(VALU_DEP_2)
	v_fma_f16 v2, v4, v5, -v6
	v_cvt_f32_f16_e32 v4, v7
	s_delay_alu instid0(VALU_DEP_2) | instskip(NEXT) | instid1(VALU_DEP_2)
	v_cvt_f32_f16_e32 v2, v2
	v_cvt_f64_f32_e32 v[4:5], v4
	s_delay_alu instid0(VALU_DEP_2) | instskip(NEXT) | instid1(VALU_DEP_2)
	v_cvt_f64_f32_e32 v[6:7], v2
	v_mul_f64_e32 v[4:5], s[6:7], v[4:5]
	s_delay_alu instid0(VALU_DEP_2) | instskip(NEXT) | instid1(VALU_DEP_2)
	v_mul_f64_e32 v[6:7], s[6:7], v[6:7]
	v_and_or_b32 v2, 0x1ff, v5, v4
	s_delay_alu instid0(VALU_DEP_2)
	v_and_or_b32 v6, 0x1ff, v7, v6
	v_lshrrev_b32_e32 v4, 8, v5
	v_bfe_u32 v8, v5, 20, 11
	v_lshrrev_b32_e32 v9, 8, v7
	v_cmp_ne_u32_e32 vcc_lo, 0, v2
	v_bfe_u32 v10, v7, 20, 11
	v_lshrrev_b32_e32 v5, 16, v5
	v_sub_nc_u32_e32 v11, 0x3f1, v8
	v_add_nc_u32_e32 v8, 0xfffffc10, v8
	s_wait_alu 0xfffd
	v_cndmask_b32_e64 v2, 0, 1, vcc_lo
	v_cmp_ne_u32_e32 vcc_lo, 0, v6
	v_lshrrev_b32_e32 v7, 16, v7
	s_delay_alu instid0(VALU_DEP_3) | instskip(SKIP_4) | instid1(VALU_DEP_3)
	v_and_or_b32 v2, 0xffe, v4, v2
	s_wait_alu 0xfffd
	v_cndmask_b32_e64 v6, 0, 1, vcc_lo
	v_sub_nc_u32_e32 v4, 0x3f1, v10
	v_add_nc_u32_e32 v10, 0xfffffc10, v10
	v_and_or_b32 v6, 0xffe, v9, v6
	v_med3_i32 v9, v11, 0, 13
	v_or_b32_e32 v11, 0x1000, v2
	v_med3_i32 v4, v4, 0, 13
	s_delay_alu instid0(VALU_DEP_4) | instskip(NEXT) | instid1(VALU_DEP_3)
	v_or_b32_e32 v12, 0x1000, v6
	v_lshrrev_b32_e32 v13, v9, v11
	s_delay_alu instid0(VALU_DEP_2) | instskip(NEXT) | instid1(VALU_DEP_2)
	v_lshrrev_b32_e32 v14, v4, v12
	v_lshlrev_b32_e32 v9, v9, v13
	s_delay_alu instid0(VALU_DEP_2) | instskip(NEXT) | instid1(VALU_DEP_2)
	v_lshlrev_b32_e32 v4, v4, v14
	v_cmp_ne_u32_e32 vcc_lo, v9, v11
	v_lshl_or_b32 v11, v8, 12, v2
	s_wait_alu 0xfffd
	v_cndmask_b32_e64 v9, 0, 1, vcc_lo
	v_cmp_ne_u32_e32 vcc_lo, v4, v12
	v_lshl_or_b32 v12, v10, 12, v6
	s_delay_alu instid0(VALU_DEP_3) | instskip(SKIP_3) | instid1(VALU_DEP_2)
	v_or_b32_e32 v9, v13, v9
	s_wait_alu 0xfffd
	v_cndmask_b32_e64 v4, 0, 1, vcc_lo
	v_cmp_gt_i32_e32 vcc_lo, 1, v8
	v_or_b32_e32 v4, v14, v4
	s_wait_alu 0xfffd
	v_cndmask_b32_e32 v9, v11, v9, vcc_lo
	v_cmp_gt_i32_e32 vcc_lo, 1, v10
	s_wait_alu 0xfffd
	s_delay_alu instid0(VALU_DEP_2) | instskip(SKIP_2) | instid1(VALU_DEP_3)
	v_dual_cndmask_b32 v4, v12, v4 :: v_dual_and_b32 v11, 7, v9
	v_cmp_ne_u32_e32 vcc_lo, 0, v2
	v_lshrrev_b32_e32 v9, 2, v9
	v_cmp_eq_u32_e64 s0, 3, v11
	s_delay_alu instid0(VALU_DEP_4)
	v_and_b32_e32 v12, 7, v4
	s_wait_alu 0xfffd
	v_cndmask_b32_e64 v2, 0, 1, vcc_lo
	v_cmp_ne_u32_e32 vcc_lo, 0, v6
	v_lshrrev_b32_e32 v4, 2, v4
	v_cmp_lt_i32_e64 s1, 5, v12
	v_cmp_eq_u32_e64 s2, 3, v12
	s_wait_alu 0xfffd
	v_cndmask_b32_e64 v6, 0, 1, vcc_lo
	v_cmp_lt_i32_e32 vcc_lo, 5, v11
	v_lshl_or_b32 v2, v2, 9, 0x7c00
	s_delay_alu instid0(VALU_DEP_3)
	v_lshl_or_b32 v6, v6, 9, 0x7c00
	s_or_b32 vcc_lo, s0, vcc_lo
	s_wait_alu 0xfffe
	v_add_co_ci_u32_e32 v9, vcc_lo, 0, v9, vcc_lo
	s_or_b32 vcc_lo, s2, s1
	s_wait_alu 0xfffe
	v_add_co_ci_u32_e32 v4, vcc_lo, 0, v4, vcc_lo
	v_cmp_gt_i32_e32 vcc_lo, 31, v8
	s_wait_alu 0xfffd
	v_cndmask_b32_e32 v9, 0x7c00, v9, vcc_lo
	v_cmp_gt_i32_e32 vcc_lo, 31, v10
	s_wait_alu 0xfffd
	v_cndmask_b32_e32 v4, 0x7c00, v4, vcc_lo
	v_cmp_eq_u32_e32 vcc_lo, 0x40f, v8
	s_wait_alu 0xfffd
	v_cndmask_b32_e32 v2, v9, v2, vcc_lo
	v_cmp_eq_u32_e32 vcc_lo, 0x40f, v10
	s_delay_alu instid0(VALU_DEP_2)
	v_and_or_b32 v2, 0x8000, v5, v2
	s_wait_alu 0xfffd
	v_cndmask_b32_e32 v4, v4, v6, vcc_lo
	v_add_co_u32 v0, vcc_lo, v0, s8
	s_wait_alu 0xfffd
	v_add_co_ci_u32_e32 v1, vcc_lo, s9, v1, vcc_lo
	s_delay_alu instid0(VALU_DEP_3) | instskip(SKIP_1) | instid1(VALU_DEP_1)
	v_and_or_b32 v4, 0x8000, v7, v4
	v_and_b32_e32 v2, 0xffff, v2
	v_lshl_or_b32 v2, v4, 16, v2
	v_lshrrev_b32_e32 v4, 16, v3
	global_store_b32 v[0:1], v2, off
	global_load_b32 v2, v[15:16], off offset:1116
	s_wait_loadcnt 0x0
	v_lshrrev_b32_e32 v5, 16, v2
	s_delay_alu instid0(VALU_DEP_1) | instskip(SKIP_1) | instid1(VALU_DEP_2)
	v_mul_f16_e32 v6, v4, v5
	v_mul_f16_e32 v5, v3, v5
	v_fmac_f16_e32 v6, v3, v2
	s_delay_alu instid0(VALU_DEP_2) | instskip(NEXT) | instid1(VALU_DEP_2)
	v_fma_f16 v2, v2, v4, -v5
	v_cvt_f32_f16_e32 v3, v6
	s_delay_alu instid0(VALU_DEP_2) | instskip(NEXT) | instid1(VALU_DEP_2)
	v_cvt_f32_f16_e32 v4, v2
	v_cvt_f64_f32_e32 v[2:3], v3
	s_delay_alu instid0(VALU_DEP_2) | instskip(NEXT) | instid1(VALU_DEP_2)
	v_cvt_f64_f32_e32 v[4:5], v4
	v_mul_f64_e32 v[2:3], s[6:7], v[2:3]
	s_delay_alu instid0(VALU_DEP_2) | instskip(NEXT) | instid1(VALU_DEP_2)
	v_mul_f64_e32 v[4:5], s[6:7], v[4:5]
	v_and_or_b32 v2, 0x1ff, v3, v2
	s_delay_alu instid0(VALU_DEP_2)
	v_and_or_b32 v4, 0x1ff, v5, v4
	v_lshrrev_b32_e32 v6, 8, v3
	v_bfe_u32 v7, v3, 20, 11
	v_lshrrev_b32_e32 v8, 8, v5
	v_cmp_ne_u32_e32 vcc_lo, 0, v2
	v_bfe_u32 v9, v5, 20, 11
	v_lshrrev_b32_e32 v3, 16, v3
	v_sub_nc_u32_e32 v10, 0x3f1, v7
	v_add_nc_u32_e32 v7, 0xfffffc10, v7
	s_wait_alu 0xfffd
	v_cndmask_b32_e64 v2, 0, 1, vcc_lo
	v_cmp_ne_u32_e32 vcc_lo, 0, v4
	v_lshrrev_b32_e32 v5, 16, v5
	s_delay_alu instid0(VALU_DEP_3) | instskip(SKIP_4) | instid1(VALU_DEP_3)
	v_and_or_b32 v2, 0xffe, v6, v2
	s_wait_alu 0xfffd
	v_cndmask_b32_e64 v4, 0, 1, vcc_lo
	v_sub_nc_u32_e32 v6, 0x3f1, v9
	v_add_nc_u32_e32 v9, 0xfffffc10, v9
	v_and_or_b32 v4, 0xffe, v8, v4
	v_med3_i32 v8, v10, 0, 13
	v_or_b32_e32 v10, 0x1000, v2
	v_med3_i32 v6, v6, 0, 13
	s_delay_alu instid0(VALU_DEP_4) | instskip(NEXT) | instid1(VALU_DEP_3)
	v_or_b32_e32 v11, 0x1000, v4
	v_lshrrev_b32_e32 v12, v8, v10
	s_delay_alu instid0(VALU_DEP_2) | instskip(NEXT) | instid1(VALU_DEP_2)
	v_lshrrev_b32_e32 v13, v6, v11
	v_lshlrev_b32_e32 v8, v8, v12
	s_delay_alu instid0(VALU_DEP_2) | instskip(NEXT) | instid1(VALU_DEP_2)
	v_lshlrev_b32_e32 v6, v6, v13
	v_cmp_ne_u32_e32 vcc_lo, v8, v10
	v_lshl_or_b32 v10, v7, 12, v2
	s_wait_alu 0xfffd
	v_cndmask_b32_e64 v8, 0, 1, vcc_lo
	v_cmp_ne_u32_e32 vcc_lo, v6, v11
	v_lshl_or_b32 v11, v9, 12, v4
	s_delay_alu instid0(VALU_DEP_3) | instskip(SKIP_3) | instid1(VALU_DEP_2)
	v_or_b32_e32 v8, v12, v8
	s_wait_alu 0xfffd
	v_cndmask_b32_e64 v6, 0, 1, vcc_lo
	v_cmp_gt_i32_e32 vcc_lo, 1, v7
	v_or_b32_e32 v6, v13, v6
	s_wait_alu 0xfffd
	v_cndmask_b32_e32 v8, v10, v8, vcc_lo
	v_cmp_gt_i32_e32 vcc_lo, 1, v9
	s_wait_alu 0xfffd
	v_cndmask_b32_e32 v6, v11, v6, vcc_lo
	v_cmp_ne_u32_e32 vcc_lo, 0, v2
	s_delay_alu instid0(VALU_DEP_2)
	v_and_b32_e32 v11, 7, v6
	s_wait_alu 0xfffd
	v_cndmask_b32_e64 v2, 0, 1, vcc_lo
	v_and_b32_e32 v10, 7, v8
	v_cmp_ne_u32_e32 vcc_lo, 0, v4
	v_lshrrev_b32_e32 v8, 2, v8
	v_cmp_lt_i32_e64 s1, 5, v11
	v_cmp_eq_u32_e64 s2, 3, v11
	v_cmp_eq_u32_e64 s0, 3, v10
	s_wait_alu 0xfffd
	v_cndmask_b32_e64 v4, 0, 1, vcc_lo
	v_cmp_lt_i32_e32 vcc_lo, 5, v10
	v_lshrrev_b32_e32 v6, 2, v6
	v_lshl_or_b32 v2, v2, 9, 0x7c00
	s_delay_alu instid0(VALU_DEP_4)
	v_lshl_or_b32 v4, v4, 9, 0x7c00
	s_or_b32 vcc_lo, s0, vcc_lo
	s_wait_alu 0xfffe
	v_add_co_ci_u32_e32 v8, vcc_lo, 0, v8, vcc_lo
	s_or_b32 vcc_lo, s2, s1
	s_wait_alu 0xfffe
	v_add_co_ci_u32_e32 v6, vcc_lo, 0, v6, vcc_lo
	v_cmp_gt_i32_e32 vcc_lo, 31, v7
	s_wait_alu 0xfffd
	v_cndmask_b32_e32 v8, 0x7c00, v8, vcc_lo
	v_cmp_gt_i32_e32 vcc_lo, 31, v9
	s_wait_alu 0xfffd
	v_cndmask_b32_e32 v6, 0x7c00, v6, vcc_lo
	v_cmp_eq_u32_e32 vcc_lo, 0x40f, v7
	s_wait_alu 0xfffd
	v_cndmask_b32_e32 v2, v8, v2, vcc_lo
	v_cmp_eq_u32_e32 vcc_lo, 0x40f, v9
	s_delay_alu instid0(VALU_DEP_2)
	v_and_or_b32 v2, 0x8000, v3, v2
	s_wait_alu 0xfffd
	v_cndmask_b32_e32 v4, v6, v4, vcc_lo
	v_add_co_u32 v0, vcc_lo, v0, s4
	s_wait_alu 0xfffd
	v_add_co_ci_u32_e32 v1, vcc_lo, s5, v1, vcc_lo
	s_delay_alu instid0(VALU_DEP_3) | instskip(SKIP_1) | instid1(VALU_DEP_1)
	v_and_or_b32 v3, 0x8000, v5, v4
	v_and_b32_e32 v2, 0xffff, v2
	v_lshl_or_b32 v2, v3, 16, v2
	ds_load_b32 v3, v62 offset:1692
	global_store_b32 v[0:1], v2, off
	global_load_b32 v2, v[15:16], off offset:1692
	s_wait_dscnt 0x0
	v_lshrrev_b32_e32 v4, 16, v3
	s_wait_loadcnt 0x0
	v_lshrrev_b32_e32 v5, 16, v2
	s_delay_alu instid0(VALU_DEP_1) | instskip(SKIP_1) | instid1(VALU_DEP_2)
	v_mul_f16_e32 v6, v4, v5
	v_mul_f16_e32 v5, v3, v5
	v_fmac_f16_e32 v6, v3, v2
	s_delay_alu instid0(VALU_DEP_2) | instskip(NEXT) | instid1(VALU_DEP_2)
	v_fma_f16 v2, v2, v4, -v5
	v_cvt_f32_f16_e32 v3, v6
	s_delay_alu instid0(VALU_DEP_2) | instskip(NEXT) | instid1(VALU_DEP_2)
	v_cvt_f32_f16_e32 v4, v2
	v_cvt_f64_f32_e32 v[2:3], v3
	s_delay_alu instid0(VALU_DEP_2) | instskip(NEXT) | instid1(VALU_DEP_2)
	v_cvt_f64_f32_e32 v[4:5], v4
	v_mul_f64_e32 v[2:3], s[6:7], v[2:3]
	s_delay_alu instid0(VALU_DEP_2) | instskip(NEXT) | instid1(VALU_DEP_2)
	v_mul_f64_e32 v[4:5], s[6:7], v[4:5]
	v_and_or_b32 v2, 0x1ff, v3, v2
	s_delay_alu instid0(VALU_DEP_2)
	v_and_or_b32 v4, 0x1ff, v5, v4
	v_lshrrev_b32_e32 v6, 8, v3
	v_bfe_u32 v7, v3, 20, 11
	v_lshrrev_b32_e32 v8, 8, v5
	v_cmp_ne_u32_e32 vcc_lo, 0, v2
	v_bfe_u32 v9, v5, 20, 11
	v_lshrrev_b32_e32 v3, 16, v3
	v_sub_nc_u32_e32 v10, 0x3f1, v7
	v_add_nc_u32_e32 v7, 0xfffffc10, v7
	s_wait_alu 0xfffd
	v_cndmask_b32_e64 v2, 0, 1, vcc_lo
	v_cmp_ne_u32_e32 vcc_lo, 0, v4
	v_lshrrev_b32_e32 v5, 16, v5
	s_delay_alu instid0(VALU_DEP_3) | instskip(SKIP_4) | instid1(VALU_DEP_3)
	v_and_or_b32 v2, 0xffe, v6, v2
	s_wait_alu 0xfffd
	v_cndmask_b32_e64 v4, 0, 1, vcc_lo
	v_sub_nc_u32_e32 v6, 0x3f1, v9
	v_add_nc_u32_e32 v9, 0xfffffc10, v9
	v_and_or_b32 v4, 0xffe, v8, v4
	v_med3_i32 v8, v10, 0, 13
	v_or_b32_e32 v10, 0x1000, v2
	v_med3_i32 v6, v6, 0, 13
	s_delay_alu instid0(VALU_DEP_4) | instskip(NEXT) | instid1(VALU_DEP_3)
	v_or_b32_e32 v11, 0x1000, v4
	v_lshrrev_b32_e32 v12, v8, v10
	s_delay_alu instid0(VALU_DEP_2) | instskip(NEXT) | instid1(VALU_DEP_2)
	v_lshrrev_b32_e32 v13, v6, v11
	v_lshlrev_b32_e32 v8, v8, v12
	s_delay_alu instid0(VALU_DEP_2) | instskip(NEXT) | instid1(VALU_DEP_2)
	v_lshlrev_b32_e32 v6, v6, v13
	v_cmp_ne_u32_e32 vcc_lo, v8, v10
	v_lshl_or_b32 v10, v7, 12, v2
	s_wait_alu 0xfffd
	v_cndmask_b32_e64 v8, 0, 1, vcc_lo
	v_cmp_ne_u32_e32 vcc_lo, v6, v11
	v_lshl_or_b32 v11, v9, 12, v4
	s_delay_alu instid0(VALU_DEP_3) | instskip(SKIP_3) | instid1(VALU_DEP_2)
	v_or_b32_e32 v8, v12, v8
	s_wait_alu 0xfffd
	v_cndmask_b32_e64 v6, 0, 1, vcc_lo
	v_cmp_gt_i32_e32 vcc_lo, 1, v7
	v_or_b32_e32 v6, v13, v6
	s_wait_alu 0xfffd
	v_cndmask_b32_e32 v8, v10, v8, vcc_lo
	v_cmp_gt_i32_e32 vcc_lo, 1, v9
	s_delay_alu instid0(VALU_DEP_2)
	v_and_b32_e32 v10, 7, v8
	s_wait_alu 0xfffd
	v_cndmask_b32_e32 v6, v11, v6, vcc_lo
	v_cmp_ne_u32_e32 vcc_lo, 0, v2
	v_lshrrev_b32_e32 v8, 2, v8
	v_cmp_eq_u32_e64 s0, 3, v10
	s_delay_alu instid0(VALU_DEP_4)
	v_and_b32_e32 v11, 7, v6
	s_wait_alu 0xfffd
	v_cndmask_b32_e64 v2, 0, 1, vcc_lo
	v_cmp_ne_u32_e32 vcc_lo, 0, v4
	v_lshrrev_b32_e32 v6, 2, v6
	v_cmp_lt_i32_e64 s1, 5, v11
	v_cmp_eq_u32_e64 s2, 3, v11
	s_wait_alu 0xfffd
	v_cndmask_b32_e64 v4, 0, 1, vcc_lo
	v_cmp_lt_i32_e32 vcc_lo, 5, v10
	v_lshl_or_b32 v2, v2, 9, 0x7c00
	s_delay_alu instid0(VALU_DEP_3)
	v_lshl_or_b32 v4, v4, 9, 0x7c00
	s_or_b32 vcc_lo, s0, vcc_lo
	s_wait_alu 0xfffe
	v_add_co_ci_u32_e32 v8, vcc_lo, 0, v8, vcc_lo
	s_or_b32 vcc_lo, s2, s1
	s_wait_alu 0xfffe
	v_add_co_ci_u32_e32 v6, vcc_lo, 0, v6, vcc_lo
	v_cmp_gt_i32_e32 vcc_lo, 31, v7
	s_wait_alu 0xfffd
	v_cndmask_b32_e32 v8, 0x7c00, v8, vcc_lo
	v_cmp_gt_i32_e32 vcc_lo, 31, v9
	s_wait_alu 0xfffd
	v_cndmask_b32_e32 v6, 0x7c00, v6, vcc_lo
	v_cmp_eq_u32_e32 vcc_lo, 0x40f, v7
	s_wait_alu 0xfffd
	v_cndmask_b32_e32 v2, v8, v2, vcc_lo
	v_cmp_eq_u32_e32 vcc_lo, 0x40f, v9
	s_delay_alu instid0(VALU_DEP_2)
	v_and_or_b32 v2, 0x8000, v3, v2
	s_wait_alu 0xfffd
	v_cndmask_b32_e32 v4, v6, v4, vcc_lo
	v_add_co_u32 v0, vcc_lo, v0, s4
	s_wait_alu 0xfffd
	v_add_co_ci_u32_e32 v1, vcc_lo, s5, v1, vcc_lo
	s_delay_alu instid0(VALU_DEP_3) | instskip(SKIP_1) | instid1(VALU_DEP_1)
	v_and_or_b32 v3, 0x8000, v5, v4
	v_and_b32_e32 v2, 0xffff, v2
	v_lshl_or_b32 v2, v3, 16, v2
	global_store_b32 v[0:1], v2, off
.LBB0_31:
	s_nop 0
	s_sendmsg sendmsg(MSG_DEALLOC_VGPRS)
	s_endpgm
	.section	.rodata,"a",@progbits
	.p2align	6, 0x0
	.amdhsa_kernel bluestein_single_back_len432_dim1_half_op_CI_CI
		.amdhsa_group_segment_fixed_size 3456
		.amdhsa_private_segment_fixed_size 0
		.amdhsa_kernarg_size 104
		.amdhsa_user_sgpr_count 2
		.amdhsa_user_sgpr_dispatch_ptr 0
		.amdhsa_user_sgpr_queue_ptr 0
		.amdhsa_user_sgpr_kernarg_segment_ptr 1
		.amdhsa_user_sgpr_dispatch_id 0
		.amdhsa_user_sgpr_private_segment_size 0
		.amdhsa_wavefront_size32 1
		.amdhsa_uses_dynamic_stack 0
		.amdhsa_enable_private_segment 0
		.amdhsa_system_sgpr_workgroup_id_x 1
		.amdhsa_system_sgpr_workgroup_id_y 0
		.amdhsa_system_sgpr_workgroup_id_z 0
		.amdhsa_system_sgpr_workgroup_info 0
		.amdhsa_system_vgpr_workitem_id 0
		.amdhsa_next_free_vgpr 208
		.amdhsa_next_free_sgpr 18
		.amdhsa_reserve_vcc 1
		.amdhsa_float_round_mode_32 0
		.amdhsa_float_round_mode_16_64 0
		.amdhsa_float_denorm_mode_32 3
		.amdhsa_float_denorm_mode_16_64 3
		.amdhsa_fp16_overflow 0
		.amdhsa_workgroup_processor_mode 1
		.amdhsa_memory_ordered 1
		.amdhsa_forward_progress 0
		.amdhsa_round_robin_scheduling 0
		.amdhsa_exception_fp_ieee_invalid_op 0
		.amdhsa_exception_fp_denorm_src 0
		.amdhsa_exception_fp_ieee_div_zero 0
		.amdhsa_exception_fp_ieee_overflow 0
		.amdhsa_exception_fp_ieee_underflow 0
		.amdhsa_exception_fp_ieee_inexact 0
		.amdhsa_exception_int_div_zero 0
	.end_amdhsa_kernel
	.text
.Lfunc_end0:
	.size	bluestein_single_back_len432_dim1_half_op_CI_CI, .Lfunc_end0-bluestein_single_back_len432_dim1_half_op_CI_CI
                                        ; -- End function
	.section	.AMDGPU.csdata,"",@progbits
; Kernel info:
; codeLenInByte = 28512
; NumSgprs: 20
; NumVgprs: 208
; ScratchSize: 0
; MemoryBound: 0
; FloatMode: 240
; IeeeMode: 1
; LDSByteSize: 3456 bytes/workgroup (compile time only)
; SGPRBlocks: 2
; VGPRBlocks: 25
; NumSGPRsForWavesPerEU: 20
; NumVGPRsForWavesPerEU: 208
; Occupancy: 7
; WaveLimiterHint : 1
; COMPUTE_PGM_RSRC2:SCRATCH_EN: 0
; COMPUTE_PGM_RSRC2:USER_SGPR: 2
; COMPUTE_PGM_RSRC2:TRAP_HANDLER: 0
; COMPUTE_PGM_RSRC2:TGID_X_EN: 1
; COMPUTE_PGM_RSRC2:TGID_Y_EN: 0
; COMPUTE_PGM_RSRC2:TGID_Z_EN: 0
; COMPUTE_PGM_RSRC2:TIDIG_COMP_CNT: 0
	.text
	.p2alignl 7, 3214868480
	.fill 96, 4, 3214868480
	.type	__hip_cuid_6d0d1ae65bd84354,@object ; @__hip_cuid_6d0d1ae65bd84354
	.section	.bss,"aw",@nobits
	.globl	__hip_cuid_6d0d1ae65bd84354
__hip_cuid_6d0d1ae65bd84354:
	.byte	0                               ; 0x0
	.size	__hip_cuid_6d0d1ae65bd84354, 1

	.ident	"AMD clang version 19.0.0git (https://github.com/RadeonOpenCompute/llvm-project roc-6.4.0 25133 c7fe45cf4b819c5991fe208aaa96edf142730f1d)"
	.section	".note.GNU-stack","",@progbits
	.addrsig
	.addrsig_sym __hip_cuid_6d0d1ae65bd84354
	.amdgpu_metadata
---
amdhsa.kernels:
  - .args:
      - .actual_access:  read_only
        .address_space:  global
        .offset:         0
        .size:           8
        .value_kind:     global_buffer
      - .actual_access:  read_only
        .address_space:  global
        .offset:         8
        .size:           8
        .value_kind:     global_buffer
      - .actual_access:  read_only
        .address_space:  global
        .offset:         16
        .size:           8
        .value_kind:     global_buffer
      - .actual_access:  read_only
        .address_space:  global
        .offset:         24
        .size:           8
        .value_kind:     global_buffer
      - .actual_access:  read_only
        .address_space:  global
        .offset:         32
        .size:           8
        .value_kind:     global_buffer
      - .offset:         40
        .size:           8
        .value_kind:     by_value
      - .address_space:  global
        .offset:         48
        .size:           8
        .value_kind:     global_buffer
      - .address_space:  global
        .offset:         56
        .size:           8
        .value_kind:     global_buffer
      - .address_space:  global
        .offset:         64
        .size:           8
        .value_kind:     global_buffer
      - .address_space:  global
        .offset:         72
        .size:           8
        .value_kind:     global_buffer
      - .offset:         80
        .size:           4
        .value_kind:     by_value
      - .address_space:  global
        .offset:         88
        .size:           8
        .value_kind:     global_buffer
      - .address_space:  global
        .offset:         96
        .size:           8
        .value_kind:     global_buffer
    .group_segment_fixed_size: 3456
    .kernarg_segment_align: 8
    .kernarg_segment_size: 104
    .language:       OpenCL C
    .language_version:
      - 2
      - 0
    .max_flat_workgroup_size: 54
    .name:           bluestein_single_back_len432_dim1_half_op_CI_CI
    .private_segment_fixed_size: 0
    .sgpr_count:     20
    .sgpr_spill_count: 0
    .symbol:         bluestein_single_back_len432_dim1_half_op_CI_CI.kd
    .uniform_work_group_size: 1
    .uses_dynamic_stack: false
    .vgpr_count:     208
    .vgpr_spill_count: 0
    .wavefront_size: 32
    .workgroup_processor_mode: 1
amdhsa.target:   amdgcn-amd-amdhsa--gfx1201
amdhsa.version:
  - 1
  - 2
...

	.end_amdgpu_metadata
